;; amdgpu-corpus repo=ROCm/aiter kind=harvested arch=n/a opt=n/a

/root/src/amdgpu-assembly/repos/ROCm__aiter/hsa/gfx950/mla/mla_a16w16_qh16_m16x4_n16x1_coex0_mask1_ps.co:	file format elf64-amdgpu

Disassembly of section .text:

0000000000002200 <_ZN5aiter42mla_a16w16_qh16_m16x4_n16x1_coex0_mask1_psE>:
	s_and_b32 s1, s1, 0xffff                                   // 000000002200: 8601FF01 0000FFFF
	s_load_dwordx2 s[28:29], s[0:1], 0xe0                      // 000000002208: C0060700 000000E0
	v_lshrrev_b32_e32 v1, 10, v0                               // 000000002210: 2002008A
	v_lshrrev_b32_e32 v2, 10, v1                               // 000000002214: 2004028A
	v_and_b32_e32 v2, 0x3ff, v2                                // 000000002218: 260404FF 000003FF
	v_and_b32_e32 v1, 0x3ff, v1                                // 000000002220: 260202FF 000003FF
	v_and_b32_e32 v0, 0x3ff, v0                                // 000000002228: 260000FF 000003FF
	v_lshrrev_b32_e32 v3, 6, v0                                // 000000002230: 20060086
	v_and_b32_e32 v0, 63, v0                                   // 000000002234: 260000BF
	s_mov_b32 s2, s2                                           // 000000002238: BE820002
	s_mov_b32 s3, s3                                           // 00000000223C: BE830003
	s_mov_b32 s4, s4                                           // 000000002240: BE840004
	v_readfirstlane_b32 s7, v3                                 // 000000002244: 7E0E0503
	s_waitcnt lgkmcnt(0)                                       // 000000002248: BF8CC07F
	s_and_b32 s29, s29, 0xffff                                 // 00000000224C: 861DFF1D 0000FFFF
	s_load_dwordx2 s[32:33], s[28:29], 0x0                     // 000000002254: C006080E 00000000
	s_load_dwordx2 s[30:31], s[28:29], 0x8                     // 00000000225C: C006078E 00000008
	s_waitcnt lgkmcnt(0)                                       // 000000002264: BF8CC07F
	s_mul_i32 s56, s2, 4                                       // 000000002268: 92388402
	s_and_b32 s33, s33, 0xffff                                 // 00000000226C: 8621FF21 0000FFFF
	s_add_u32 s32, s56, s32                                    // 000000002274: 80202038
	s_addc_u32 s33, 0, s33                                     // 000000002278: 82212180
	s_load_dword s85, s[32:33], 0x0                            // 00000000227C: C0021550 00000000
	s_load_dword s86, s[32:33], 0x4                            // 000000002284: C0021590 00000004
	s_and_b32 s31, s31, 0xffff                                 // 00000000228C: 861FFF1F 0000FFFF
	s_waitcnt lgkmcnt(0)                                       // 000000002294: BF8CC07F
	s_cmp_eq_i32 s85, s86                                      // 000000002298: BF005655
	s_cbranch_scc1 label_195D                                  // 00000000229C: BF851935
	s_mul_i32 s56, s85, 32                                     // 0000000022A0: 9238A055

00000000000022a4 <label_0029>:
	s_waitcnt vmcnt(0) expcnt(0) lgkmcnt(0)                    // 0000000022A4: BF8C0000
	s_barrier                                                  // 0000000022A8: BF8A0000
	s_add_u32 s30, s56, s30                                    // 0000000022AC: 801E1E38
	s_addc_u32 s31, 0, s31                                     // 0000000022B0: 821F1F80
	s_load_dword s87, s[30:31], 0x4                            // 0000000022B4: C00215CF 00000004
	s_load_dword s78, s[30:31], 0x8                            // 0000000022BC: C002138F 00000008
	s_load_dword s79, s[30:31], 0xc                            // 0000000022C4: C00213CF 0000000C
	s_load_dword s46, s[30:31], 0x10                           // 0000000022CC: C0020B8F 00000010
	s_load_dword s47, s[30:31], 0x14                           // 0000000022D4: C0020BCF 00000014
	s_load_dword s62, s[30:31], 0x18                           // 0000000022DC: C0020F8F 00000018
	s_load_dwordx2 s[8:9], s[0:1], 0x0                         // 0000000022E4: C0060200 00000000
	s_load_dwordx2 s[12:13], s[0:1], 0x10                      // 0000000022EC: C0060300 00000010
	s_load_dwordx2 s[16:17], s[0:1], 0x20                      // 0000000022F4: C0060400 00000020
	s_load_dwordx2 s[20:21], s[0:1], 0x30                      // 0000000022FC: C0060500 00000030
	s_load_dwordx2 s[24:25], s[0:1], 0x50                      // 000000002304: C0060600 00000050
	s_load_dword s64, s[0:1], 0x70                             // 00000000230C: C0021000 00000070
	s_load_dword s65, s[0:1], 0x80                             // 000000002314: C0021040 00000080
	s_load_dword s66, s[0:1], 0xa0                             // 00000000231C: C0021080 000000A0
	s_load_dword s68, s[0:1], 0xb0                             // 000000002324: C0021100 000000B0
	s_load_dword s69, s[0:1], 0xc0                             // 00000000232C: C0021140 000000C0
	s_load_dwordx2 s[88:89], s[0:1], 0xf0                      // 000000002334: C0061600 000000F0
	s_waitcnt lgkmcnt(0)                                       // 00000000233C: BF8CC07F
	s_mov_b32 s65, 16                                          // 000000002340: BEC10090
	s_mul_i32 s75, 0x800, s65                                  // 000000002344: 924B41FF 00000800
	s_mul_i32 s74, 0x480, s65                                  // 00000000234C: 924A41FF 00000480
	s_mul_i32 s56, 4, s65                                      // 000000002354: 92384184
	s_mov_b32 s10, s75                                         // 000000002358: BE8A004B
	s_mov_b32 s18, -16                                         // 00000000235C: BE9200D0
	s_mov_b32 s14, -16                                         // 000000002360: BE8E00D0
	s_mov_b32 s22, -16                                         // 000000002364: BE9600D0
	s_mov_b32 s26, -16                                         // 000000002368: BE9A00D0
	s_mov_b32 s11, 0x20000                                     // 00000000236C: BE8B00FF 00020000
	s_mov_b32 s91, 0x20000                                     // 000000002374: BEDB00FF 00020000
	s_mov_b32 s19, 0x20000                                     // 00000000237C: BE9300FF 00020000
	s_mov_b32 s15, 0x20000                                     // 000000002384: BE8F00FF 00020000
	s_mov_b32 s23, 0x20000                                     // 00000000238C: BE9700FF 00020000
	s_mov_b32 s27, 0x20000                                     // 000000002394: BE9B00FF 00020000
	s_and_b32 s9, s9, 0xffff                                   // 00000000239C: 8609FF09 0000FFFF
	s_and_b32 s89, s89, 0xffff                                 // 0000000023A4: 8659FF59 0000FFFF
	s_and_b32 s17, s17, 0xffff                                 // 0000000023AC: 8611FF11 0000FFFF
	s_and_b32 s13, s13, 0xffff                                 // 0000000023B4: 860DFF0D 0000FFFF
	s_and_b32 s21, s21, 0xffff                                 // 0000000023BC: 8615FF15 0000FFFF
	s_and_b32 s25, s25, 0xffff                                 // 0000000023C4: 8619FF19 0000FFFF
	s_or_b32 s9, s9, 0x40000                                   // 0000000023CC: 8709FF09 00040000
	s_or_b32 s89, s89, 0x40000                                 // 0000000023D4: 8759FF59 00040000
	s_or_b32 s17, s17, 0x40000                                 // 0000000023DC: 8711FF11 00040000
	s_or_b32 s13, s13, 0x40000                                 // 0000000023E4: 870DFF0D 00040000
	s_or_b32 s21, s21, 0x40000                                 // 0000000023EC: 8715FF15 00040000
	s_or_b32 s25, s25, 0x40000                                 // 0000000023F4: 8719FF19 00040000
	s_waitcnt lgkmcnt(0)                                       // 0000000023FC: BF8CC07F
	s_mov_b32 s67, 1                                           // 000000002400: BEC30081
	s_mov_b32 s80, 0                                           // 000000002404: BED00080
	s_sub_u32 s81, s79, s78                                    // 000000002408: 80D14E4F
	s_mov_b32 s69, 0                                           // 00000000240C: BEC50080
	s_lshr_b32 s44, 16, s69                                    // 000000002410: 8F2C4590
	s_mul_i32 s73, s44, 4                                      // 000000002414: 9249842C
	s_mul_i32 s73, s73, s67                                    // 000000002418: 92494349
	s_mul_i32 s45, s4, s44                                     // 00000000241C: 922D2C04
	s_sub_u32 s50, s47, s46                                    // 000000002420: 80B22E2F
	s_lshl_b32 s56, s50, s69                                   // 000000002424: 8E384532
	s_sub_u32 s82, s56, s81                                    // 000000002428: 80D25138
	s_mov_b32 s58, s62                                         // 00000000242C: BEBA003E
	s_add_u32 s82, s82, s58                                    // 000000002430: 80523A52
	s_add_u32 s57, s82, 8                                      // 000000002434: 80398852
	s_min_u32 s56, s56, s57                                    // 000000002438: 83B83938
	s_lshr_b32 s50, s56, s69                                   // 00000000243C: 8F324538
	s_lshl_b32 s56, s45, s69                                   // 000000002440: 8E38452D
	s_add_u32 s83, s56, 15                                     // 000000002444: 80538F38
	s_mul_i32 s84, s67, 16                                     // 000000002448: 92549043
	s_cmp_le_u32 s50, s45                                      // 00000000244C: BF0B2D32
	s_cbranch_scc1 label_195D                                  // 000000002450: BF8518C8
	s_mul_i32 s56, s50, 4                                      // 000000002454: 92388432
	s_mov_b32 s26, s56                                         // 000000002458: BE9A0038
	s_mul_i32 s56, s46, 4                                      // 00000000245C: 9238842E
	s_add_u32 s24, s56, s24                                    // 000000002460: 80181838
	s_addc_u32 s25, 0, s25                                     // 000000002464: 82191980
	s_mov_b32 s70, 0                                           // 000000002468: BEC60080
	s_sub_u32 s71, s50, s45                                    // 00000000246C: 80C72D32
	s_mul_i32 s39, s67, s44                                    // 000000002470: 92272C43
	s_mov_b32 s38, s71                                         // 000000002474: BEA60047
	v_cvt_f32_u32_e32 v20, s39                                 // 000000002478: 7E280C27
	s_sub_i32 s56, 0, s39                                      // 00000000247C: 81B82780
	v_rcp_iflag_f32_e32 v20, v20                               // 000000002480: 7E284714
	s_nop 0                                                    // 000000002484: BF800000
	v_mul_f32_e32 v20, 0x4f7ffffe, v20                         // 000000002488: 0A2828FF 4F7FFFFE
	v_cvt_u32_f32_e32 v20, v20                                 // 000000002490: 7E280F14
	v_mul_lo_u32 v21, s56, v20                                 // 000000002494: D2850015 00022838
	v_mul_hi_u32 v21, v20, v21                                 // 00000000249C: D2860015 00022B14
	v_add_u32_e32 v20, v20, v21                                // 0000000024A4: 68282B14
	v_mul_hi_u32 v20, s38, v20                                 // 0000000024A8: D2860014 00022826
	v_mul_lo_u32 v21, v20, s39                                 // 0000000024B0: D2850015 00004F14
	v_sub_u32_e32 v23, s38, v21                                // 0000000024B8: 6A2E2A26
	v_add_u32_e32 v22, 1, v20                                  // 0000000024BC: 682C2881
	v_cmp_le_u32_e32 vcc, s39, v23                             // 0000000024C0: 7D962E27
	v_subrev_u32_e32 v21, s39, v23                             // 0000000024C4: 6C2A2E27
	s_nop 0                                                    // 0000000024C8: BF800000
	v_cndmask_b32_e32 v20, v20, v22, vcc                       // 0000000024CC: 00282D14
	v_cndmask_b32_e32 v23, v23, v21, vcc                       // 0000000024D0: 002E2B17
	v_add_u32_e32 v21, 1, v20                                  // 0000000024D4: 682A2881
	v_cmp_le_u32_e32 vcc, s39, v23                             // 0000000024D8: 7D962E27
	s_nop 1                                                    // 0000000024DC: BF800001
	v_cndmask_b32_e32 v23, v20, v21, vcc                       // 0000000024E0: 002E2B14
	s_nop 3                                                    // 0000000024E4: BF800003
	v_readfirstlane_b32 s40, v23                               // 0000000024E8: 7E500517
	s_nop 3                                                    // 0000000024EC: BF800003
	s_mov_b32 s71, s40                                         // 0000000024F0: BEC70028
	s_mul_i32 s56, s71, s39                                    // 0000000024F4: 92382747
	s_sub_u32 s56, s38, s56                                    // 0000000024F8: 80B83826
	s_mov_b32 s57, 0                                           // 0000000024FC: BEB90080
	s_cmp_lt_u32 s56, s44                                      // 000000002500: BF0A2C38
	s_cselect_b32 s57, s57, 1                                  // 000000002504: 85398139
	s_add_u32 s71, s57, s71                                    // 000000002508: 80474739
	s_cmpk_eq_u32 s57, 0x1                                     // 00000000250C: B4390001
	s_cselect_b32 s49, 0, s56                                  // 000000002510: 85313880
	s_mov_b32 s48, s49                                         // 000000002514: BEB00031
	v_lshrrev_b32_e32 v20, 3, v0                               // 000000002518: 20280083
	v_and_b32_e32 v21, 1, v20                                  // 00000000251C: 262A2881
	v_lshlrev_b32_e32 v8, 3, v21                               // 000000002520: 24102A83
	v_and_b32_e32 v20, 4, v20                                  // 000000002524: 26282884
	v_add_u32_e32 v8, v8, v20                                  // 000000002528: 68102908
	v_add_u32_e64 v8, v8, s7                                   // 00000000252C: D1340008 00000F08
	v_add_u32_e32 v8, s45, v8                                  // 000000002534: 6810102D
	v_lshlrev_b32_e32 v8, 2, v8                                // 000000002538: 24101082
	buffer_load_dword v10, v8, s[24:27], 0 offen               // 00000000253C: E0501000 80060A08
	v_add_u32_e32 v8, s73, v8                                  // 000000002544: 68101049
	buffer_load_dword v11, v8, s[24:27], 0 offen               // 000000002548: E0501000 80060B08
	v_add_u32_e32 v8, s73, v8                                  // 000000002550: 68101049
	s_add_u32 s56, s80, s78                                    // 000000002554: 80384E50
	v_mov_b32_e32 v20, s56                                     // 000000002558: 7E280238
	v_mul_lo_u32 v21, s74, v20                                 // 00000000255C: D2850015 0002284A
	v_mul_hi_u32 v22, s74, v20                                 // 000000002564: D2860016 0002284A
	s_nop 2                                                    // 00000000256C: BF800002
	v_readfirstlane_b32 s56, v21                               // 000000002570: 7E700515
	v_readfirstlane_b32 s57, v22                               // 000000002574: 7E720516
	s_nop 4                                                    // 000000002578: BF800004
	s_add_u32 s16, s56, s16                                    // 00000000257C: 80101038
	s_addc_u32 s17, s57, s17                                   // 000000002580: 82111139
	s_sub_u32 s56, s81, s80                                    // 000000002584: 80B85051
	s_mul_i32 s56, s56, s74                                    // 000000002588: 92384A38
	s_mov_b32 s18, s56                                         // 00000000258C: BE920038
	s_mul_i32 s56, s7, 0x480                                   // 000000002590: 9238FF07 00000480
	v_lshlrev_b32_e32 v30, 2, v0                               // 000000002598: 243C0082
	v_add_u32_e32 v30, s56, v30                                // 00000000259C: 683C3C38
	s_mul_i32 s56, s7, 0x1420                                  // 0000000025A0: 9238FF07 00001420
	s_add_u32 s34, 0, s56                                      // 0000000025A8: 80223880
	s_add_u32 s35, 0x5080, s34                                 // 0000000025AC: 802322FF 00005080
	s_add_u32 s36, 0x5080, s35                                 // 0000000025B4: 802423FF 00005080
	v_lshrrev_b32_e32 v20, 4, v0                               // 0000000025BC: 20280084
	v_lshlrev_b32_e32 v21, 2, v20                              // 0000000025C0: 242A2882
	v_and_b32_e32 v20, 15, v0                                  // 0000000025C4: 2628008F
	v_lshrrev_b32_e32 v22, 2, v20                              // 0000000025C8: 202C2882
	v_mul_i32_i24_e32 v22, 0x140, v22                          // 0000000025CC: 0C2C2CFF 00000140
	v_add_u32_e32 v21, v22, v21                                // 0000000025D4: 682A2B16
	v_and_b32_e32 v20, 3, v0                                   // 0000000025D8: 26280083
	v_mul_i32_i24_e32 v22, 0x508, v20                          // 0000000025DC: 0C2C28FF 00000508
	v_add_u32_e32 v21, v22, v21                                // 0000000025E4: 682A2B16
	v_lshlrev_b32_e32 v29, 2, v21                              // 0000000025E8: 243A2A82
	s_mov_b32 m0, s34                                          // 0000000025EC: BEFC0022
	v_add_u32_e32 v28, 0, v30                                  // 0000000025F0: 68383C80
	buffer_load_dword v28, s[16:19], 0 offen lds               // 0000000025F4: E0511000 8004001C
	buffer_load_dword v28, s[16:19], 0 offen offset:256 lds    // 0000000025FC: E0511100 8004001C
	buffer_load_dword v28, s[16:19], 0 offen offset:512 lds    // 000000002604: E0511200 8004001C
	buffer_load_dword v28, s[16:19], 0 offen offset:768 lds    // 00000000260C: E0511300 8004001C
	buffer_load_dword v28, s[16:19], 0 offen offset:1024 lds   // 000000002614: E0511400 8004001C
	s_add_u32 m0, m0, 0x500                                    // 00000000261C: 807CFF7C 00000500
	v_add_u32_e32 v28, 0x1200, v28                             // 000000002624: 683838FF 00001200
	buffer_load_dword v28, s[16:19], 0 offen lds               // 00000000262C: E0511000 8004001C
	buffer_load_dword v28, s[16:19], 0 offen offset:256 lds    // 000000002634: E0511100 8004001C
	buffer_load_dword v28, s[16:19], 0 offen offset:512 lds    // 00000000263C: E0511200 8004001C
	buffer_load_dword v28, s[16:19], 0 offen offset:768 lds    // 000000002644: E0511300 8004001C
	buffer_load_dword v28, s[16:19], 0 offen offset:1024 lds   // 00000000264C: E0511400 8004001C
	s_add_u32 m0, m0, 0x500                                    // 000000002654: 807CFF7C 00000500
	v_add_u32_e32 v28, 0x1200, v28                             // 00000000265C: 683838FF 00001200
	buffer_load_dword v28, s[16:19], 0 offen lds               // 000000002664: E0511000 8004001C
	buffer_load_dword v28, s[16:19], 0 offen offset:256 lds    // 00000000266C: E0511100 8004001C
	buffer_load_dword v28, s[16:19], 0 offen offset:512 lds    // 000000002674: E0511200 8004001C
	buffer_load_dword v28, s[16:19], 0 offen offset:768 lds    // 00000000267C: E0511300 8004001C
	buffer_load_dword v28, s[16:19], 0 offen offset:1024 lds   // 000000002684: E0511400 8004001C
	s_add_u32 m0, m0, 0x500                                    // 00000000268C: 807CFF7C 00000500
	v_add_u32_e32 v28, 0x1200, v28                             // 000000002694: 683838FF 00001200
	buffer_load_dword v28, s[16:19], 0 offen lds               // 00000000269C: E0511000 8004001C
	buffer_load_dword v28, s[16:19], 0 offen offset:256 lds    // 0000000026A4: E0511100 8004001C
	buffer_load_dword v28, s[16:19], 0 offen offset:512 lds    // 0000000026AC: E0511200 8004001C
	buffer_load_dword v28, s[16:19], 0 offen offset:768 lds    // 0000000026B4: E0511300 8004001C
	buffer_load_dword v28, s[16:19], 0 offen offset:1024 lds   // 0000000026BC: E0511400 8004001C
	s_add_u32 m0, m0, 0x500                                    // 0000000026C4: 807CFF7C 00000500
	v_add_u32_e32 v28, 0x1200, v28                             // 0000000026CC: 683838FF 00001200
	s_mov_b32 m0, s35                                          // 0000000026D4: BEFC0023
	v_add_u32_e32 v28, 0x4800, v30                             // 0000000026D8: 68383CFF 00004800
	buffer_load_dword v28, s[16:19], 0 offen lds               // 0000000026E0: E0511000 8004001C
	buffer_load_dword v28, s[16:19], 0 offen offset:256 lds    // 0000000026E8: E0511100 8004001C
	buffer_load_dword v28, s[16:19], 0 offen offset:512 lds    // 0000000026F0: E0511200 8004001C
	buffer_load_dword v28, s[16:19], 0 offen offset:768 lds    // 0000000026F8: E0511300 8004001C
	buffer_load_dword v28, s[16:19], 0 offen offset:1024 lds   // 000000002700: E0511400 8004001C
	s_add_u32 m0, m0, 0x500                                    // 000000002708: 807CFF7C 00000500
	v_add_u32_e32 v28, 0x1200, v28                             // 000000002710: 683838FF 00001200
	buffer_load_dword v28, s[16:19], 0 offen lds               // 000000002718: E0511000 8004001C
	buffer_load_dword v28, s[16:19], 0 offen offset:256 lds    // 000000002720: E0511100 8004001C
	buffer_load_dword v28, s[16:19], 0 offen offset:512 lds    // 000000002728: E0511200 8004001C
	buffer_load_dword v28, s[16:19], 0 offen offset:768 lds    // 000000002730: E0511300 8004001C
	buffer_load_dword v28, s[16:19], 0 offen offset:1024 lds   // 000000002738: E0511400 8004001C
	s_add_u32 m0, m0, 0x500                                    // 000000002740: 807CFF7C 00000500
	v_add_u32_e32 v28, 0x1200, v28                             // 000000002748: 683838FF 00001200
	buffer_load_dword v28, s[16:19], 0 offen lds               // 000000002750: E0511000 8004001C
	buffer_load_dword v28, s[16:19], 0 offen offset:256 lds    // 000000002758: E0511100 8004001C
	buffer_load_dword v28, s[16:19], 0 offen offset:512 lds    // 000000002760: E0511200 8004001C
	buffer_load_dword v28, s[16:19], 0 offen offset:768 lds    // 000000002768: E0511300 8004001C
	buffer_load_dword v28, s[16:19], 0 offen offset:1024 lds   // 000000002770: E0511400 8004001C
	s_add_u32 m0, m0, 0x500                                    // 000000002778: 807CFF7C 00000500
	v_add_u32_e32 v28, 0x1200, v28                             // 000000002780: 683838FF 00001200
	buffer_load_dword v28, s[16:19], 0 offen lds               // 000000002788: E0511000 8004001C
	buffer_load_dword v28, s[16:19], 0 offen offset:256 lds    // 000000002790: E0511100 8004001C
	buffer_load_dword v28, s[16:19], 0 offen offset:512 lds    // 000000002798: E0511200 8004001C
	buffer_load_dword v28, s[16:19], 0 offen offset:768 lds    // 0000000027A0: E0511300 8004001C
	buffer_load_dword v28, s[16:19], 0 offen offset:1024 lds   // 0000000027A8: E0511400 8004001C
	s_add_u32 m0, m0, 0x500                                    // 0000000027B0: 807CFF7C 00000500
	v_add_u32_e32 v28, 0x1200, v28                             // 0000000027B8: 683838FF 00001200
	s_waitcnt vmcnt(20)                                        // 0000000027C0: BF8C4F74
	s_barrier                                                  // 0000000027C4: BF8A0000
	s_mov_b32 m0, s36                                          // 0000000027C8: BEFC0024
	v_add_u32_e32 v28, 0x9000, v30                             // 0000000027CC: 68383CFF 00009000
	buffer_load_dword v28, s[16:19], 0 offen lds               // 0000000027D4: E0511000 8004001C
	buffer_load_dword v28, s[16:19], 0 offen offset:256 lds    // 0000000027DC: E0511100 8004001C
	buffer_load_dword v28, s[16:19], 0 offen offset:512 lds    // 0000000027E4: E0511200 8004001C
	buffer_load_dword v28, s[16:19], 0 offen offset:768 lds    // 0000000027EC: E0511300 8004001C
	buffer_load_dword v28, s[16:19], 0 offen offset:1024 lds   // 0000000027F4: E0511400 8004001C
	s_add_u32 m0, m0, 0x500                                    // 0000000027FC: 807CFF7C 00000500
	v_add_u32_e32 v28, 0x1200, v28                             // 000000002804: 683838FF 00001200
	buffer_load_dword v28, s[16:19], 0 offen lds               // 00000000280C: E0511000 8004001C
	buffer_load_dword v28, s[16:19], 0 offen offset:256 lds    // 000000002814: E0511100 8004001C
	buffer_load_dword v28, s[16:19], 0 offen offset:512 lds    // 00000000281C: E0511200 8004001C
	buffer_load_dword v28, s[16:19], 0 offen offset:768 lds    // 000000002824: E0511300 8004001C
	buffer_load_dword v28, s[16:19], 0 offen offset:1024 lds   // 00000000282C: E0511400 8004001C
	s_add_u32 m0, m0, 0x500                                    // 000000002834: 807CFF7C 00000500
	v_add_u32_e32 v28, 0x1200, v28                             // 00000000283C: 683838FF 00001200
	buffer_load_dword v28, s[16:19], 0 offen lds               // 000000002844: E0511000 8004001C
	buffer_load_dword v28, s[16:19], 0 offen offset:256 lds    // 00000000284C: E0511100 8004001C
	buffer_load_dword v28, s[16:19], 0 offen offset:512 lds    // 000000002854: E0511200 8004001C
	buffer_load_dword v28, s[16:19], 0 offen offset:768 lds    // 00000000285C: E0511300 8004001C
	buffer_load_dword v28, s[16:19], 0 offen offset:1024 lds   // 000000002864: E0511400 8004001C
	s_add_u32 m0, m0, 0x500                                    // 00000000286C: 807CFF7C 00000500
	v_add_u32_e32 v28, 0x1200, v28                             // 000000002874: 683838FF 00001200
	buffer_load_dword v28, s[16:19], 0 offen lds               // 00000000287C: E0511000 8004001C
	buffer_load_dword v28, s[16:19], 0 offen offset:256 lds    // 000000002884: E0511100 8004001C
	buffer_load_dword v28, s[16:19], 0 offen offset:512 lds    // 00000000288C: E0511200 8004001C
	buffer_load_dword v28, s[16:19], 0 offen offset:768 lds    // 000000002894: E0511300 8004001C
	buffer_load_dword v28, s[16:19], 0 offen offset:1024 lds   // 00000000289C: E0511400 8004001C
	s_add_u32 m0, m0, 0x500                                    // 0000000028A4: 807CFF7C 00000500
	v_add_u32_e32 v28, 0x1200, v28                             // 0000000028AC: 683838FF 00001200
	s_cmp_eq_i32 s7, 0                                         // 0000000028B4: BF008007
	s_cbranch_scc0 label_01D4                                  // 0000000028B8: BF840025
	ds_read_b128 a[0:3], v29                                   // 0000000028BC: DBFE0000 0000001D
	ds_read_b128 a[4:7], v29 offset:64                         // 0000000028C4: DBFE0040 0400001D
	ds_read_b128 a[8:11], v29 offset:128                       // 0000000028CC: DBFE0080 0800001D
	ds_read_b128 a[12:15], v29 offset:192                      // 0000000028D4: DBFE00C0 0C00001D
	ds_read_b128 a[16:19], v29 offset:256                      // 0000000028DC: DBFE0100 1000001D
	ds_read_b128 a[20:23], v29 offset:320                      // 0000000028E4: DBFE0140 1400001D
	ds_read_b128 a[24:27], v29 offset:384                      // 0000000028EC: DBFE0180 1800001D
	ds_read_b128 a[28:31], v29 offset:448                      // 0000000028F4: DBFE01C0 1C00001D
	ds_read_b128 a[32:35], v29 offset:512                      // 0000000028FC: DBFE0200 2000001D
	ds_read_b128 a[36:39], v29 offset:576                      // 000000002904: DBFE0240 2400001D
	ds_read_b128 a[40:43], v29 offset:640                      // 00000000290C: DBFE0280 2800001D
	ds_read_b128 a[44:47], v29 offset:704                      // 000000002914: DBFE02C0 2C00001D
	ds_read_b128 a[48:51], v29 offset:768                      // 00000000291C: DBFE0300 3000001D
	ds_read_b128 a[52:55], v29 offset:832                      // 000000002924: DBFE0340 3400001D
	ds_read_b128 a[56:59], v29 offset:896                      // 00000000292C: DBFE0380 3800001D
	ds_read_b128 a[60:63], v29 offset:960                      // 000000002934: DBFE03C0 3C00001D
	ds_read_b128 a[64:67], v29 offset:1024                     // 00000000293C: DBFE0400 4000001D
	ds_read_b128 a[68:71], v29 offset:1088                     // 000000002944: DBFE0440 4400001D
	s_waitcnt lgkmcnt(0)                                       // 00000000294C: BF8CC07F

0000000000002950 <label_01D4>:
	s_waitcnt vmcnt(20)                                        // 000000002950: BF8C4F74
	s_barrier                                                  // 000000002954: BF8A0000
	s_mov_b32 m0, s34                                          // 000000002958: BEFC0022
	v_add_u32_e32 v28, 0xd800, v30                             // 00000000295C: 68383CFF 0000D800
	buffer_load_dword v28, s[16:19], 0 offen lds               // 000000002964: E0511000 8004001C
	buffer_load_dword v28, s[16:19], 0 offen offset:256 lds    // 00000000296C: E0511100 8004001C
	buffer_load_dword v28, s[16:19], 0 offen offset:512 lds    // 000000002974: E0511200 8004001C
	buffer_load_dword v28, s[16:19], 0 offen offset:768 lds    // 00000000297C: E0511300 8004001C
	buffer_load_dword v28, s[16:19], 0 offen offset:1024 lds   // 000000002984: E0511400 8004001C
	s_add_u32 m0, m0, 0x500                                    // 00000000298C: 807CFF7C 00000500
	v_add_u32_e32 v28, 0x1200, v28                             // 000000002994: 683838FF 00001200
	buffer_load_dword v28, s[16:19], 0 offen lds               // 00000000299C: E0511000 8004001C
	buffer_load_dword v28, s[16:19], 0 offen offset:256 lds    // 0000000029A4: E0511100 8004001C
	buffer_load_dword v28, s[16:19], 0 offen offset:512 lds    // 0000000029AC: E0511200 8004001C
	buffer_load_dword v28, s[16:19], 0 offen offset:768 lds    // 0000000029B4: E0511300 8004001C
	buffer_load_dword v28, s[16:19], 0 offen offset:1024 lds   // 0000000029BC: E0511400 8004001C
	s_add_u32 m0, m0, 0x500                                    // 0000000029C4: 807CFF7C 00000500
	v_add_u32_e32 v28, 0x1200, v28                             // 0000000029CC: 683838FF 00001200
	buffer_load_dword v28, s[16:19], 0 offen lds               // 0000000029D4: E0511000 8004001C
	buffer_load_dword v28, s[16:19], 0 offen offset:256 lds    // 0000000029DC: E0511100 8004001C
	buffer_load_dword v28, s[16:19], 0 offen offset:512 lds    // 0000000029E4: E0511200 8004001C
	buffer_load_dword v28, s[16:19], 0 offen offset:768 lds    // 0000000029EC: E0511300 8004001C
	buffer_load_dword v28, s[16:19], 0 offen offset:1024 lds   // 0000000029F4: E0511400 8004001C
	s_add_u32 m0, m0, 0x500                                    // 0000000029FC: 807CFF7C 00000500
	v_add_u32_e32 v28, 0x1200, v28                             // 000000002A04: 683838FF 00001200
	buffer_load_dword v28, s[16:19], 0 offen lds               // 000000002A0C: E0511000 8004001C
	buffer_load_dword v28, s[16:19], 0 offen offset:256 lds    // 000000002A14: E0511100 8004001C
	buffer_load_dword v28, s[16:19], 0 offen offset:512 lds    // 000000002A1C: E0511200 8004001C
	buffer_load_dword v28, s[16:19], 0 offen offset:768 lds    // 000000002A24: E0511300 8004001C
	buffer_load_dword v28, s[16:19], 0 offen offset:1024 lds   // 000000002A2C: E0511400 8004001C
	s_add_u32 m0, m0, 0x500                                    // 000000002A34: 807CFF7C 00000500
	v_add_u32_e32 v28, 0x1200, v28                             // 000000002A3C: 683838FF 00001200
	s_cmp_eq_i32 s7, 1                                         // 000000002A44: BF008107
	s_cbranch_scc0 label_0238                                  // 000000002A48: BF840025
	ds_read_b128 a[0:3], v29 offset:20608                      // 000000002A4C: DBFE5080 0000001D
	ds_read_b128 a[4:7], v29 offset:20672                      // 000000002A54: DBFE50C0 0400001D
	ds_read_b128 a[8:11], v29 offset:20736                     // 000000002A5C: DBFE5100 0800001D
	ds_read_b128 a[12:15], v29 offset:20800                    // 000000002A64: DBFE5140 0C00001D
	ds_read_b128 a[16:19], v29 offset:20864                    // 000000002A6C: DBFE5180 1000001D
	ds_read_b128 a[20:23], v29 offset:20928                    // 000000002A74: DBFE51C0 1400001D
	ds_read_b128 a[24:27], v29 offset:20992                    // 000000002A7C: DBFE5200 1800001D
	ds_read_b128 a[28:31], v29 offset:21056                    // 000000002A84: DBFE5240 1C00001D
	ds_read_b128 a[32:35], v29 offset:21120                    // 000000002A8C: DBFE5280 2000001D
	ds_read_b128 a[36:39], v29 offset:21184                    // 000000002A94: DBFE52C0 2400001D
	ds_read_b128 a[40:43], v29 offset:21248                    // 000000002A9C: DBFE5300 2800001D
	ds_read_b128 a[44:47], v29 offset:21312                    // 000000002AA4: DBFE5340 2C00001D
	ds_read_b128 a[48:51], v29 offset:21376                    // 000000002AAC: DBFE5380 3000001D
	ds_read_b128 a[52:55], v29 offset:21440                    // 000000002AB4: DBFE53C0 3400001D
	ds_read_b128 a[56:59], v29 offset:21504                    // 000000002ABC: DBFE5400 3800001D
	ds_read_b128 a[60:63], v29 offset:21568                    // 000000002AC4: DBFE5440 3C00001D
	ds_read_b128 a[64:67], v29 offset:21632                    // 000000002ACC: DBFE5480 4000001D
	ds_read_b128 a[68:71], v29 offset:21696                    // 000000002AD4: DBFE54C0 4400001D
	s_waitcnt lgkmcnt(0)                                       // 000000002ADC: BF8CC07F

0000000000002ae0 <label_0238>:
	s_waitcnt vmcnt(20)                                        // 000000002AE0: BF8C4F74
	s_barrier                                                  // 000000002AE4: BF8A0000
	s_cmp_eq_i32 s7, 2                                         // 000000002AE8: BF008207
	s_cbranch_scc0 label_0261                                  // 000000002AEC: BF840025
	ds_read_b128 a[0:3], v29 offset:41216                      // 000000002AF0: DBFEA100 0000001D
	ds_read_b128 a[4:7], v29 offset:41280                      // 000000002AF8: DBFEA140 0400001D
	ds_read_b128 a[8:11], v29 offset:41344                     // 000000002B00: DBFEA180 0800001D
	ds_read_b128 a[12:15], v29 offset:41408                    // 000000002B08: DBFEA1C0 0C00001D
	ds_read_b128 a[16:19], v29 offset:41472                    // 000000002B10: DBFEA200 1000001D
	ds_read_b128 a[20:23], v29 offset:41536                    // 000000002B18: DBFEA240 1400001D
	ds_read_b128 a[24:27], v29 offset:41600                    // 000000002B20: DBFEA280 1800001D
	ds_read_b128 a[28:31], v29 offset:41664                    // 000000002B28: DBFEA2C0 1C00001D
	ds_read_b128 a[32:35], v29 offset:41728                    // 000000002B30: DBFEA300 2000001D
	ds_read_b128 a[36:39], v29 offset:41792                    // 000000002B38: DBFEA340 2400001D
	ds_read_b128 a[40:43], v29 offset:41856                    // 000000002B40: DBFEA380 2800001D
	ds_read_b128 a[44:47], v29 offset:41920                    // 000000002B48: DBFEA3C0 2C00001D
	ds_read_b128 a[48:51], v29 offset:41984                    // 000000002B50: DBFEA400 3000001D
	ds_read_b128 a[52:55], v29 offset:42048                    // 000000002B58: DBFEA440 3400001D
	ds_read_b128 a[56:59], v29 offset:42112                    // 000000002B60: DBFEA480 3800001D
	ds_read_b128 a[60:63], v29 offset:42176                    // 000000002B68: DBFEA4C0 3C00001D
	ds_read_b128 a[64:67], v29 offset:42240                    // 000000002B70: DBFEA500 4000001D
	ds_read_b128 a[68:71], v29 offset:42304                    // 000000002B78: DBFEA540 4400001D
	s_waitcnt lgkmcnt(0)                                       // 000000002B80: BF8CC07F

0000000000002b84 <label_0261>:
	s_waitcnt vmcnt(0)                                         // 000000002B84: BF8C0F70
	s_barrier                                                  // 000000002B88: BF8A0000
	s_cmp_eq_i32 s7, 3                                         // 000000002B8C: BF008307
	s_cbranch_scc0 label_028A                                  // 000000002B90: BF840025
	ds_read_b128 a[0:3], v29                                   // 000000002B94: DBFE0000 0000001D
	ds_read_b128 a[4:7], v29 offset:64                         // 000000002B9C: DBFE0040 0400001D
	ds_read_b128 a[8:11], v29 offset:128                       // 000000002BA4: DBFE0080 0800001D
	ds_read_b128 a[12:15], v29 offset:192                      // 000000002BAC: DBFE00C0 0C00001D
	ds_read_b128 a[16:19], v29 offset:256                      // 000000002BB4: DBFE0100 1000001D
	ds_read_b128 a[20:23], v29 offset:320                      // 000000002BBC: DBFE0140 1400001D
	ds_read_b128 a[24:27], v29 offset:384                      // 000000002BC4: DBFE0180 1800001D
	ds_read_b128 a[28:31], v29 offset:448                      // 000000002BCC: DBFE01C0 1C00001D
	ds_read_b128 a[32:35], v29 offset:512                      // 000000002BD4: DBFE0200 2000001D
	ds_read_b128 a[36:39], v29 offset:576                      // 000000002BDC: DBFE0240 2400001D
	ds_read_b128 a[40:43], v29 offset:640                      // 000000002BE4: DBFE0280 2800001D
	ds_read_b128 a[44:47], v29 offset:704                      // 000000002BEC: DBFE02C0 2C00001D
	ds_read_b128 a[48:51], v29 offset:768                      // 000000002BF4: DBFE0300 3000001D
	ds_read_b128 a[52:55], v29 offset:832                      // 000000002BFC: DBFE0340 3400001D
	ds_read_b128 a[56:59], v29 offset:896                      // 000000002C04: DBFE0380 3800001D
	ds_read_b128 a[60:63], v29 offset:960                      // 000000002C0C: DBFE03C0 3C00001D
	ds_read_b128 a[64:67], v29 offset:1024                     // 000000002C14: DBFE0400 4000001D
	ds_read_b128 a[68:71], v29 offset:1088                     // 000000002C1C: DBFE0440 4400001D
	s_waitcnt lgkmcnt(0)                                       // 000000002C24: BF8CC07F

0000000000002c28 <label_028A>:
	s_waitcnt vmcnt(0)                                         // 000000002C28: BF8C0F70
	s_barrier                                                  // 000000002C2C: BF8A0000
	s_mov_b32 s52, 0x7060302                                   // 000000002C30: BEB400FF 07060302
	s_mov_b32 s53, 0x5040100                                   // 000000002C38: BEB500FF 05040100
	s_mov_b32 s6, 0x3fb8aa3b                                   // 000000002C40: BE8600FF 3FB8AA3B
	v_mov_b32_e32 v21, s6                                      // 000000002C48: 7E2A0206
	v_mov_b32_e32 v20, s64                                     // 000000002C4C: 7E280240
	v_mul_f32_e32 v20, s6, v20                                 // 000000002C50: 0A282806
	v_rcp_f32_e32 v21, v21                                     // 000000002C54: 7E2A4515
	v_mov_b32_e32 v12, 0xff7fffff                              // 000000002C58: 7E1802FF FF7FFFFF
	v_mov_b32_e32 v13, 0xff7fffff                              // 000000002C60: 7E1A02FF FF7FFFFF
	v_mov_b32_e32 v16, 0                                       // 000000002C68: 7E200280
	v_mov_b32_e32 v17, 0                                       // 000000002C6C: 7E220280
	v_mov_b32_e32 v14, 0                                       // 000000002C70: 7E1C0280
	v_mov_b32_e32 v15, 0                                       // 000000002C74: 7E1E0280
	v_mov_b32_e32 v9, s68                                      // 000000002C78: 7E120244
	v_readfirstlane_b32 s5, v20                                // 000000002C7C: 7E0A0514
	v_readfirstlane_b32 s63, v21                               // 000000002C80: 7E7E0515
	v_and_b32_e32 v2, 15, v0                                   // 000000002C84: 2604008F
	v_lshlrev_b32_e32 v2, 2, v2                                // 000000002C88: 24040482
	s_mul_i32 s56, 0x100, s7                                   // 000000002C8C: 923807FF 00000100
	v_add_u32_e32 v2, s56, v2                                  // 000000002C94: 68040438
	v_lshlrev_b32_e32 v3, 2, v0                                // 000000002C98: 24060082
	s_mul_i32 s56, 0x100, s7                                   // 000000002C9C: 923807FF 00000100
	v_add_u32_e32 v3, s56, v3                                  // 000000002CA4: 68060638
	v_and_b32_e32 v20, 31, v0                                  // 000000002CA8: 2628009F
	v_lshlrev_b32_e32 v1, 2, v20                               // 000000002CAC: 24022882
	s_mul_i32 s34, s7, 0x1220                                  // 000000002CB0: 9222FF07 00001220
	s_add_u32 s34, 0, s34                                      // 000000002CB8: 80222280
	s_add_u32 s35, 0x900, s34                                  // 000000002CBC: 802322FF 00000900
	s_add_u32 s36, 0x4880, s34                                 // 000000002CC4: 802422FF 00004880
	s_add_u32 s37, 0x4880, s35                                 // 000000002CCC: 802523FF 00004880
	s_waitcnt vmcnt(0)                                         // 000000002CD4: BF8C0F70
	v_mul_u32_u24_dpp v18, v10, v9 row_newbcast:0 row_mask:0xf bank_mask:0xf// 000000002CD8: 102412FA FF01500A
	v_mul_u32_u24_dpp v19, v10, v9 row_newbcast:8 row_mask:0xf bank_mask:0xf// 000000002CE0: 102612FA FF01580A
	v_add_u32_e32 v18, v18, v1                                 // 000000002CE8: 68240312
	v_add_u32_e32 v19, v19, v1                                 // 000000002CEC: 68260313
	s_mov_b32 m0, s34                                          // 000000002CF0: BEFC0022
	buffer_load_dword v18, s[20:23], 0 offen lds               // 000000002CF4: E0511000 80050012
	s_add_u32 m0, 0, s35                                       // 000000002CFC: 807C2380
	buffer_load_dword v19, s[20:23], 0 offen lds               // 000000002D00: E0511000 80050013
	s_add_u32 m0, 0x80, s34                                    // 000000002D08: 807C22FF 00000080
	buffer_load_dword v18, s[20:23], 0 offen offset:128 lds    // 000000002D10: E0511080 80050012
	s_add_u32 m0, 0x80, s35                                    // 000000002D18: 807C23FF 00000080
	buffer_load_dword v19, s[20:23], 0 offen offset:128 lds    // 000000002D20: E0511080 80050013
	s_add_u32 m0, 0x100, s34                                   // 000000002D28: 807C22FF 00000100
	buffer_load_dword v18, s[20:23], 0 offen offset:256 lds    // 000000002D30: E0511100 80050012
	s_add_u32 m0, 0x100, s35                                   // 000000002D38: 807C23FF 00000100
	buffer_load_dword v19, s[20:23], 0 offen offset:256 lds    // 000000002D40: E0511100 80050013
	s_add_u32 m0, 0x180, s34                                   // 000000002D48: 807C22FF 00000180
	buffer_load_dword v18, s[20:23], 0 offen offset:384 lds    // 000000002D50: E0511180 80050012
	s_add_u32 m0, 0x180, s35                                   // 000000002D58: 807C23FF 00000180
	buffer_load_dword v19, s[20:23], 0 offen offset:384 lds    // 000000002D60: E0511180 80050013
	s_add_u32 m0, 0x200, s34                                   // 000000002D68: 807C22FF 00000200
	buffer_load_dword v18, s[20:23], 0 offen offset:512 lds    // 000000002D70: E0511200 80050012
	s_add_u32 m0, 0x200, s35                                   // 000000002D78: 807C23FF 00000200
	buffer_load_dword v19, s[20:23], 0 offen offset:512 lds    // 000000002D80: E0511200 80050013
	s_add_u32 m0, 0x280, s34                                   // 000000002D88: 807C22FF 00000280
	buffer_load_dword v18, s[20:23], 0 offen offset:640 lds    // 000000002D90: E0511280 80050012
	s_add_u32 m0, 0x280, s35                                   // 000000002D98: 807C23FF 00000280
	buffer_load_dword v19, s[20:23], 0 offen offset:640 lds    // 000000002DA0: E0511280 80050013
	s_add_u32 m0, 0x300, s34                                   // 000000002DA8: 807C22FF 00000300
	buffer_load_dword v18, s[20:23], 0 offen offset:768 lds    // 000000002DB0: E0511300 80050012
	s_add_u32 m0, 0x300, s35                                   // 000000002DB8: 807C23FF 00000300
	buffer_load_dword v19, s[20:23], 0 offen offset:768 lds    // 000000002DC0: E0511300 80050013
	s_add_u32 m0, 0x380, s34                                   // 000000002DC8: 807C22FF 00000380
	buffer_load_dword v18, s[20:23], 0 offen offset:896 lds    // 000000002DD0: E0511380 80050012
	s_add_u32 m0, 0x380, s35                                   // 000000002DD8: 807C23FF 00000380
	buffer_load_dword v19, s[20:23], 0 offen offset:896 lds    // 000000002DE0: E0511380 80050013
	s_add_u32 m0, 0x400, s34                                   // 000000002DE8: 807C22FF 00000400
	buffer_load_dword v18, s[20:23], 0 offen offset:1024 lds   // 000000002DF0: E0511400 80050012
	s_add_u32 m0, 0x400, s35                                   // 000000002DF8: 807C23FF 00000400
	buffer_load_dword v19, s[20:23], 0 offen offset:1024 lds   // 000000002E00: E0511400 80050013
	s_add_u32 m0, 0x480, s34                                   // 000000002E08: 807C22FF 00000480
	buffer_load_dword v10, v8, s[24:27], 0 offen               // 000000002E10: E0501000 80060A08
	v_add_u32_e32 v8, s73, v8                                  // 000000002E18: 68101049
	v_mov_b32_e32 v40, 0                                       // 000000002E1C: 7E500280
	v_mov_b32_e32 v41, 0                                       // 000000002E20: 7E520280
	v_mov_b32_e32 v42, 0                                       // 000000002E24: 7E540280
	v_mov_b32_e32 v43, 0                                       // 000000002E28: 7E560280
	v_mov_b32_e32 v44, 0                                       // 000000002E2C: 7E580280
	v_mov_b32_e32 v45, 0                                       // 000000002E30: 7E5A0280
	v_mov_b32_e32 v46, 0                                       // 000000002E34: 7E5C0280
	v_mov_b32_e32 v47, 0                                       // 000000002E38: 7E5E0280
	v_mov_b32_e32 v48, 0                                       // 000000002E3C: 7E600280
	v_mov_b32_e32 v49, 0                                       // 000000002E40: 7E620280
	v_mov_b32_e32 v50, 0                                       // 000000002E44: 7E640280
	v_mov_b32_e32 v51, 0                                       // 000000002E48: 7E660280
	v_mov_b32_e32 v52, 0                                       // 000000002E4C: 7E680280
	v_mov_b32_e32 v53, 0                                       // 000000002E50: 7E6A0280
	v_mov_b32_e32 v54, 0                                       // 000000002E54: 7E6C0280
	v_mov_b32_e32 v55, 0                                       // 000000002E58: 7E6E0280
	v_mov_b32_e32 v56, 0                                       // 000000002E5C: 7E700280
	v_mov_b32_e32 v57, 0                                       // 000000002E60: 7E720280
	v_mov_b32_e32 v58, 0                                       // 000000002E64: 7E740280
	v_mov_b32_e32 v59, 0                                       // 000000002E68: 7E760280
	v_mov_b32_e32 v60, 0                                       // 000000002E6C: 7E780280
	v_mov_b32_e32 v61, 0                                       // 000000002E70: 7E7A0280
	v_mov_b32_e32 v62, 0                                       // 000000002E74: 7E7C0280
	v_mov_b32_e32 v63, 0                                       // 000000002E78: 7E7E0280
	v_mov_b32_e32 v64, 0                                       // 000000002E7C: 7E800280
	v_mov_b32_e32 v65, 0                                       // 000000002E80: 7E820280
	v_mov_b32_e32 v66, 0                                       // 000000002E84: 7E840280
	v_mov_b32_e32 v67, 0                                       // 000000002E88: 7E860280
	v_mov_b32_e32 v68, 0                                       // 000000002E8C: 7E880280
	v_mov_b32_e32 v69, 0                                       // 000000002E90: 7E8A0280
	v_mov_b32_e32 v70, 0                                       // 000000002E94: 7E8C0280
	v_mov_b32_e32 v71, 0                                       // 000000002E98: 7E8E0280
	v_mov_b32_e32 v72, 0                                       // 000000002E9C: 7E900280
	v_mov_b32_e32 v73, 0                                       // 000000002EA0: 7E920280
	v_mov_b32_e32 v74, 0                                       // 000000002EA4: 7E940280
	v_mov_b32_e32 v75, 0                                       // 000000002EA8: 7E960280
	v_mov_b32_e32 v76, 0                                       // 000000002EAC: 7E980280
	v_mov_b32_e32 v77, 0                                       // 000000002EB0: 7E9A0280
	v_mov_b32_e32 v78, 0                                       // 000000002EB4: 7E9C0280
	v_mov_b32_e32 v79, 0                                       // 000000002EB8: 7E9E0280
	v_mov_b32_e32 v80, 0                                       // 000000002EBC: 7EA00280
	v_mov_b32_e32 v81, 0                                       // 000000002EC0: 7EA20280
	v_mov_b32_e32 v82, 0                                       // 000000002EC4: 7EA40280
	v_mov_b32_e32 v83, 0                                       // 000000002EC8: 7EA60280
	v_mov_b32_e32 v84, 0                                       // 000000002ECC: 7EA80280
	v_mov_b32_e32 v85, 0                                       // 000000002ED0: 7EAA0280
	v_mov_b32_e32 v86, 0                                       // 000000002ED4: 7EAC0280
	v_mov_b32_e32 v87, 0                                       // 000000002ED8: 7EAE0280
	v_mov_b32_e32 v88, 0                                       // 000000002EDC: 7EB00280
	v_mov_b32_e32 v89, 0                                       // 000000002EE0: 7EB20280
	v_mov_b32_e32 v90, 0                                       // 000000002EE4: 7EB40280
	v_mov_b32_e32 v91, 0                                       // 000000002EE8: 7EB60280
	v_mov_b32_e32 v92, 0                                       // 000000002EEC: 7EB80280
	v_mov_b32_e32 v93, 0                                       // 000000002EF0: 7EBA0280
	v_mov_b32_e32 v94, 0                                       // 000000002EF4: 7EBC0280
	v_mov_b32_e32 v95, 0                                       // 000000002EF8: 7EBE0280
	v_mov_b32_e32 v96, 0                                       // 000000002EFC: 7EC00280
	v_mov_b32_e32 v97, 0                                       // 000000002F00: 7EC20280
	v_mov_b32_e32 v98, 0                                       // 000000002F04: 7EC40280
	v_mov_b32_e32 v99, 0                                       // 000000002F08: 7EC60280
	v_mov_b32_e32 v100, 0                                      // 000000002F0C: 7EC80280
	v_mov_b32_e32 v101, 0                                      // 000000002F10: 7ECA0280
	v_mov_b32_e32 v102, 0                                      // 000000002F14: 7ECC0280
	v_mov_b32_e32 v103, 0                                      // 000000002F18: 7ECE0280
	v_mov_b32_e32 v104, 0                                      // 000000002F1C: 7ED00280
	v_mov_b32_e32 v105, 0                                      // 000000002F20: 7ED20280
	v_mov_b32_e32 v106, 0                                      // 000000002F24: 7ED40280
	v_mov_b32_e32 v107, 0                                      // 000000002F28: 7ED60280
	v_mov_b32_e32 v108, 0                                      // 000000002F2C: 7ED80280
	v_mov_b32_e32 v109, 0                                      // 000000002F30: 7EDA0280
	v_mov_b32_e32 v110, 0                                      // 000000002F34: 7EDC0280
	v_mov_b32_e32 v111, 0                                      // 000000002F38: 7EDE0280
	v_mov_b32_e32 v112, 0                                      // 000000002F3C: 7EE00280
	v_mov_b32_e32 v113, 0                                      // 000000002F40: 7EE20280
	v_mov_b32_e32 v114, 0                                      // 000000002F44: 7EE40280
	v_mov_b32_e32 v115, 0                                      // 000000002F48: 7EE60280
	v_mov_b32_e32 v116, 0                                      // 000000002F4C: 7EE80280
	v_mov_b32_e32 v117, 0                                      // 000000002F50: 7EEA0280
	v_mov_b32_e32 v118, 0                                      // 000000002F54: 7EEC0280
	v_mov_b32_e32 v119, 0                                      // 000000002F58: 7EEE0280
	v_mov_b32_e32 v120, 0                                      // 000000002F5C: 7EF00280
	v_mov_b32_e32 v121, 0                                      // 000000002F60: 7EF20280
	v_mov_b32_e32 v122, 0                                      // 000000002F64: 7EF40280
	v_mov_b32_e32 v123, 0                                      // 000000002F68: 7EF60280
	v_mov_b32_e32 v124, 0                                      // 000000002F6C: 7EF80280
	v_mov_b32_e32 v125, 0                                      // 000000002F70: 7EFA0280
	v_mov_b32_e32 v126, 0                                      // 000000002F74: 7EFC0280
	v_mov_b32_e32 v127, 0                                      // 000000002F78: 7EFE0280
	v_mov_b32_e32 v128, 0                                      // 000000002F7C: 7F000280
	v_mov_b32_e32 v129, 0                                      // 000000002F80: 7F020280
	v_mov_b32_e32 v130, 0                                      // 000000002F84: 7F040280
	v_mov_b32_e32 v131, 0                                      // 000000002F88: 7F060280
	v_mov_b32_e32 v132, 0                                      // 000000002F8C: 7F080280
	v_mov_b32_e32 v133, 0                                      // 000000002F90: 7F0A0280
	v_mov_b32_e32 v134, 0                                      // 000000002F94: 7F0C0280
	v_mov_b32_e32 v135, 0                                      // 000000002F98: 7F0E0280
	v_mov_b32_e32 v136, 0                                      // 000000002F9C: 7F100280
	v_mov_b32_e32 v137, 0                                      // 000000002FA0: 7F120280
	v_mov_b32_e32 v138, 0                                      // 000000002FA4: 7F140280
	v_mov_b32_e32 v139, 0                                      // 000000002FA8: 7F160280
	v_mov_b32_e32 v140, 0                                      // 000000002FAC: 7F180280
	v_mov_b32_e32 v141, 0                                      // 000000002FB0: 7F1A0280
	v_mov_b32_e32 v142, 0                                      // 000000002FB4: 7F1C0280
	v_mov_b32_e32 v143, 0                                      // 000000002FB8: 7F1E0280
	v_mov_b32_e32 v144, 0                                      // 000000002FBC: 7F200280
	v_mov_b32_e32 v145, 0                                      // 000000002FC0: 7F220280
	v_mov_b32_e32 v146, 0                                      // 000000002FC4: 7F240280
	v_mov_b32_e32 v147, 0                                      // 000000002FC8: 7F260280
	v_mov_b32_e32 v148, 0                                      // 000000002FCC: 7F280280
	v_mov_b32_e32 v149, 0                                      // 000000002FD0: 7F2A0280
	v_mov_b32_e32 v150, 0                                      // 000000002FD4: 7F2C0280
	v_mov_b32_e32 v151, 0                                      // 000000002FD8: 7F2E0280
	v_mov_b32_e32 v152, 0                                      // 000000002FDC: 7F300280
	v_mov_b32_e32 v153, 0                                      // 000000002FE0: 7F320280
	v_mov_b32_e32 v154, 0                                      // 000000002FE4: 7F340280
	v_mov_b32_e32 v155, 0                                      // 000000002FE8: 7F360280
	v_mov_b32_e32 v156, 0                                      // 000000002FEC: 7F380280
	v_mov_b32_e32 v157, 0                                      // 000000002FF0: 7F3A0280
	v_mov_b32_e32 v158, 0                                      // 000000002FF4: 7F3C0280
	v_mov_b32_e32 v159, 0                                      // 000000002FF8: 7F3E0280
	v_mov_b32_e32 v160, 0                                      // 000000002FFC: 7F400280
	v_mov_b32_e32 v161, 0                                      // 000000003000: 7F420280
	v_mov_b32_e32 v162, 0                                      // 000000003004: 7F440280
	v_mov_b32_e32 v163, 0                                      // 000000003008: 7F460280
	v_mov_b32_e32 v164, 0                                      // 00000000300C: 7F480280
	v_mov_b32_e32 v165, 0                                      // 000000003010: 7F4A0280
	v_mov_b32_e32 v166, 0                                      // 000000003014: 7F4C0280
	v_mov_b32_e32 v167, 0                                      // 000000003018: 7F4E0280
	v_lshrrev_b32_e32 v20, 4, v0                               // 00000000301C: 20280084
	v_mul_i32_i24_e32 v21, 4, v20                              // 000000003020: 0C2A2884
	v_and_b32_e32 v20, 15, v0                                  // 000000003024: 2628008F
	v_and_b32_e32 v22, 3, v20                                  // 000000003028: 262C2883
	v_mul_i32_i24_e32 v22, 0x488, v22                          // 00000000302C: 0C2C2CFF 00000488
	v_add_u32_e32 v4, v22, v21                                 // 000000003034: 68082B16
	v_lshrrev_b32_e32 v20, 2, v20                              // 000000003038: 20282882
	v_and_b32_e32 v21, 1, v20                                  // 00000000303C: 262A2881
	v_mul_i32_i24_e32 v21, 32, v21                             // 000000003040: 0C2A2AA0
	v_add_u32_e32 v4, v4, v21                                  // 000000003044: 68082B04
	v_and_b32_e32 v21, 2, v20                                  // 000000003048: 262A2882
	v_mul_i32_i24_e32 v21, 0x120, v21                          // 00000000304C: 0C2A2AFF 00000120
	v_add_u32_e32 v4, v4, v21                                  // 000000003054: 68082B04
	v_lshlrev_b32_e32 v4, 2, v4                                // 000000003058: 24080882
	v_lshrrev_b32_e32 v20, 4, v0                               // 00000000305C: 20280084
	v_and_b32_e32 v21, 1, v20                                  // 000000003060: 262A2881
	v_mul_i32_i24_e32 v5, 32, v21                              // 000000003064: 0C0A2AA0
	v_and_b32_e32 v21, 2, v20                                  // 000000003068: 262A2882
	v_mul_i32_i24_e32 v21, 0x120, v21                          // 00000000306C: 0C2A2AFF 00000120
	v_add_u32_e32 v5, v5, v21                                  // 000000003074: 680A2B05
	v_and_b32_e32 v20, 15, v0                                  // 000000003078: 2628008F
	v_mul_i32_i24_e32 v21, 2, v20                              // 00000000307C: 0C2A2882
	v_add_u32_e32 v5, v5, v21                                  // 000000003080: 680A2B05
	s_mul_i32 s56, 64, s7                                      // 000000003084: 923807C0
	v_add_u32_e64 v5, v5, s56                                  // 000000003088: D1340005 00007105
	v_lshlrev_b32_e32 v5, 2, v5                                // 000000003090: 240A0A82
	v_lshlrev_b32_e32 v6, 2, v0                                // 000000003094: 240C0082
	s_mul_i32 s56, 0x200, s7                                   // 000000003098: 923807FF 00000200
	v_add_u32_e64 v6, v6, s56                                  // 0000000030A0: D1340006 00007106
	v_lshlrev_b32_e32 v6, 2, v6                                // 0000000030A8: 240C0C82
	v_lshlrev_b32_e32 v7, 4, v0                                // 0000000030AC: 240E0084
	v_mul_u32_u24_dpp v18, v11, v9 row_newbcast:0 row_mask:0xf bank_mask:0xf// 0000000030B0: 102412FA FF01500B
	v_mul_u32_u24_dpp v19, v11, v9 row_newbcast:8 row_mask:0xf bank_mask:0xf// 0000000030B8: 102612FA FF01580B
	v_add_u32_e32 v18, v18, v1                                 // 0000000030C0: 68240312
	v_add_u32_e32 v19, v19, v1                                 // 0000000030C4: 68260313
	s_mov_b32 m0, s36                                          // 0000000030C8: BEFC0024
	buffer_load_dword v11, v8, s[24:27], 0 offen               // 0000000030CC: E0501000 80060B08
	v_add_u32_e32 v8, s73, v8                                  // 0000000030D4: 68101049
	buffer_load_dword v18, s[20:23], 0 offen lds               // 0000000030D8: E0511000 80050012
	s_add_u32 m0, 0, s37                                       // 0000000030E0: 807C2580
	buffer_load_dword v19, s[20:23], 0 offen lds               // 0000000030E4: E0511000 80050013
	s_add_u32 m0, 0x80, s36                                    // 0000000030EC: 807C24FF 00000080
	buffer_load_dword v18, s[20:23], 0 offen offset:128 lds    // 0000000030F4: E0511080 80050012
	s_add_u32 m0, 0x80, s37                                    // 0000000030FC: 807C25FF 00000080
	buffer_load_dword v19, s[20:23], 0 offen offset:128 lds    // 000000003104: E0511080 80050013
	s_add_u32 m0, 0x100, s36                                   // 00000000310C: 807C24FF 00000100
	buffer_load_dword v18, s[20:23], 0 offen offset:256 lds    // 000000003114: E0511100 80050012
	s_add_u32 m0, 0x100, s37                                   // 00000000311C: 807C25FF 00000100
	buffer_load_dword v19, s[20:23], 0 offen offset:256 lds    // 000000003124: E0511100 80050013
	s_add_u32 m0, 0x180, s36                                   // 00000000312C: 807C24FF 00000180
	buffer_load_dword v18, s[20:23], 0 offen offset:384 lds    // 000000003134: E0511180 80050012
	s_add_u32 m0, 0x180, s37                                   // 00000000313C: 807C25FF 00000180
	buffer_load_dword v19, s[20:23], 0 offen offset:384 lds    // 000000003144: E0511180 80050013
	s_add_u32 m0, 0x200, s36                                   // 00000000314C: 807C24FF 00000200
	buffer_load_dword v18, s[20:23], 0 offen offset:512 lds    // 000000003154: E0511200 80050012
	s_add_u32 m0, 0x200, s37                                   // 00000000315C: 807C25FF 00000200
	buffer_load_dword v19, s[20:23], 0 offen offset:512 lds    // 000000003164: E0511200 80050013
	s_add_u32 m0, 0x280, s36                                   // 00000000316C: 807C24FF 00000280
	buffer_load_dword v18, s[20:23], 0 offen offset:640 lds    // 000000003174: E0511280 80050012
	s_add_u32 m0, 0x280, s37                                   // 00000000317C: 807C25FF 00000280
	buffer_load_dword v19, s[20:23], 0 offen offset:640 lds    // 000000003184: E0511280 80050013
	s_add_u32 m0, 0x300, s36                                   // 00000000318C: 807C24FF 00000300
	buffer_load_dword v18, s[20:23], 0 offen offset:768 lds    // 000000003194: E0511300 80050012
	s_add_u32 m0, 0x300, s37                                   // 00000000319C: 807C25FF 00000300
	buffer_load_dword v19, s[20:23], 0 offen offset:768 lds    // 0000000031A4: E0511300 80050013
	s_add_u32 m0, 0x380, s36                                   // 0000000031AC: 807C24FF 00000380
	buffer_load_dword v18, s[20:23], 0 offen offset:896 lds    // 0000000031B4: E0511380 80050012
	s_add_u32 m0, 0x380, s37                                   // 0000000031BC: 807C25FF 00000380
	buffer_load_dword v19, s[20:23], 0 offen offset:896 lds    // 0000000031C4: E0511380 80050013
	s_add_u32 m0, 0x400, s36                                   // 0000000031CC: 807C24FF 00000400
	buffer_load_dword v18, s[20:23], 0 offen offset:1024 lds   // 0000000031D4: E0511400 80050012
	s_add_u32 m0, 0x400, s37                                   // 0000000031DC: 807C25FF 00000400
	buffer_load_dword v19, s[20:23], 0 offen offset:1024 lds   // 0000000031E4: E0511400 80050013
	s_add_u32 m0, 0x480, s36                                   // 0000000031EC: 807C24FF 00000480
	s_waitcnt vmcnt(19) lgkmcnt(0)                             // 0000000031F4: BF8C4073
	s_barrier                                                  // 0000000031F8: BF8A0000
	v_mul_u32_u24_dpp v18, v10, v9 row_newbcast:0 row_mask:0xf bank_mask:0xf// 0000000031FC: 102412FA FF01500A
	v_mul_u32_u24_dpp v19, v10, v9 row_newbcast:8 row_mask:0xf bank_mask:0xf// 000000003204: 102612FA FF01580A
	v_add_u32_e32 v18, v18, v1                                 // 00000000320C: 68240312
	v_add_u32_e32 v19, v19, v1                                 // 000000003210: 68260313
	s_mov_b32 m0, s34                                          // 000000003214: BEFC0022
	ds_read_b128 a[144:147], v4                                // 000000003218: DBFE0000 90000004
	ds_read_b128 a[148:151], v4 offset:64                      // 000000003220: DBFE0040 94000004
	ds_read_b128 a[152:155], v4 offset:256                     // 000000003228: DBFE0100 98000004
	ds_read_b128 a[156:159], v4 offset:320                     // 000000003230: DBFE0140 9C000004
	ds_read_b128 a[160:163], v4 offset:512                     // 000000003238: DBFE0200 A0000004
	ds_read_b128 a[164:167], v4 offset:576                     // 000000003240: DBFE0240 A4000004
	ds_read_b128 a[168:171], v4 offset:768                     // 000000003248: DBFE0300 A8000004
	ds_read_b128 a[172:175], v4 offset:832                     // 000000003250: DBFE0340 AC000004
	ds_read_b128 a[176:179], v4 offset:1024                    // 000000003258: DBFE0400 B0000004
	ds_read_b128 a[180:183], v4 offset:1088                    // 000000003260: DBFE0440 B4000004
	ds_read_b128 a[184:187], v4 offset:1280                    // 000000003268: DBFE0500 B8000004
	ds_read_b128 a[188:191], v4 offset:1344                    // 000000003270: DBFE0540 BC000004
	ds_read_b128 a[192:195], v4 offset:1536                    // 000000003278: DBFE0600 C0000004
	ds_read_b128 a[196:199], v4 offset:1600                    // 000000003280: DBFE0640 C4000004
	ds_read_b128 a[200:203], v4 offset:1792                    // 000000003288: DBFE0700 C8000004
	ds_read_b128 a[204:207], v4 offset:1856                    // 000000003290: DBFE0740 CC000004
	ds_read_b128 a[208:211], v4 offset:2048                    // 000000003298: DBFE0800 D0000004
	ds_read_b128 a[212:215], v4 offset:2112                    // 0000000032A0: DBFE0840 D4000004
	ds_read_b64 v[20:21], v5                                   // 0000000032A8: D8EC0000 14000005
	ds_read_b64 v[22:23], v5 offset:4640                       // 0000000032B0: D8EC1220 16000005
	ds_read_b64 v[24:25], v5 offset:9280                       // 0000000032B8: D8EC2440 18000005
	ds_read_b64 v[26:27], v5 offset:13920                      // 0000000032C0: D8EC3660 1A000005
	s_waitcnt lgkmcnt(0)                                       // 0000000032C8: BF8CC07F
	v_perm_b32 v168, v22, v20, s53                             // 0000000032CC: D1ED00A8 00D62916
	v_perm_b32 v170, v22, v20, s52                             // 0000000032D4: D1ED00AA 00D22916
	v_perm_b32 v169, v26, v24, s53                             // 0000000032DC: D1ED00A9 00D6311A
	v_perm_b32 v171, v26, v24, s52                             // 0000000032E4: D1ED00AB 00D2311A
	ds_write_b128 v6, v[168:171] offset:37120                  // 0000000032EC: D9BE9100 0000A806
	v_perm_b32 v168, v23, v21, s53                             // 0000000032F4: D1ED00A8 00D62B17
	v_perm_b32 v170, v23, v21, s52                             // 0000000032FC: D1ED00AA 00D22B17
	v_perm_b32 v169, v27, v25, s53                             // 000000003304: D1ED00A9 00D6331B
	v_perm_b32 v171, v27, v25, s52                             // 00000000330C: D1ED00AB 00D2331B
	ds_write_b128 v6, v[168:171] offset:38144                  // 000000003314: D9BE9500 0000A806
	ds_read_b64 v[20:21], v5 offset:1024                       // 00000000331C: D8EC0400 14000005
	ds_read_b64 v[22:23], v5 offset:5664                       // 000000003324: D8EC1620 16000005
	ds_read_b64 v[24:25], v5 offset:10304                      // 00000000332C: D8EC2840 18000005
	ds_read_b64 v[26:27], v5 offset:14944                      // 000000003334: D8EC3A60 1A000005
	s_waitcnt lgkmcnt(0)                                       // 00000000333C: BF8CC07F
	v_perm_b32 v168, v22, v20, s53                             // 000000003340: D1ED00A8 00D62916
	v_perm_b32 v170, v22, v20, s52                             // 000000003348: D1ED00AA 00D22916
	v_perm_b32 v169, v26, v24, s53                             // 000000003350: D1ED00A9 00D6311A
	v_perm_b32 v171, v26, v24, s52                             // 000000003358: D1ED00AB 00D2311A
	ds_write_b128 v6, v[168:171] offset:45312                  // 000000003360: D9BEB100 0000A806
	v_perm_b32 v168, v23, v21, s53                             // 000000003368: D1ED00A8 00D62B17
	v_perm_b32 v170, v23, v21, s52                             // 000000003370: D1ED00AA 00D22B17
	v_perm_b32 v169, v27, v25, s53                             // 000000003378: D1ED00A9 00D6331B
	v_perm_b32 v171, v27, v25, s52                             // 000000003380: D1ED00AB 00D2331B
	ds_write_b128 v6, v[168:171] offset:46336                  // 000000003388: D9BEB500 0000A806
	s_nop 0                                                    // 000000003390: BF800000
	s_cmp_lt_u32 s71, 1                                        // 000000003394: BF0A8147
	s_cbranch_scc1 label_0E00                                  // 000000003398: BF850999
	s_cmp_lt_i32 s7, 2                                         // 00000000339C: BF048207
	s_cbranch_scc0 label_0935                                  // 0000000033A0: BF8404CC

00000000000033a4 <label_0469>:
	s_waitcnt lgkmcnt(4)                                       // 0000000033A4: BF8CC47F
	v_mfma_f32_16x16x16_bf16 v[32:35], a[144:145], a[0:1], 0   // 0000000033A8: D3E10020 1A020190
	ds_read_b128 a[176:179], v4 offset:1024                    // 0000000033B0: DBFE0400 B0000004
	ds_read_b128 a[180:183], v4 offset:1088                    // 0000000033B8: DBFE0440 B4000004
	v_mfma_f32_16x16x16_bf16 v[32:35], a[146:147], a[2:3], v[32:35]// 0000000033C0: D3E10020 1C820592
	buffer_load_dword v10, v8, s[24:27], 0 offen               // 0000000033C8: E0501000 80060A08
	v_mfma_f32_16x16x16_bf16 v[32:35], a[148:149], a[4:5], v[32:35]// 0000000033D0: D3E10020 1C820994
	v_mfma_f32_16x16x16_bf16 v[32:35], a[150:151], a[6:7], v[32:35]// 0000000033D8: D3E10020 1C820D96
	v_mfma_f32_16x16x16_bf16 v[32:35], a[152:153], a[8:9], v[32:35]// 0000000033E0: D3E10020 1C821198
	ds_read_b128 a[184:187], v4 offset:1280                    // 0000000033E8: DBFE0500 B8000004
	ds_read_b128 a[188:191], v4 offset:1344                    // 0000000033F0: DBFE0540 BC000004
	v_mfma_f32_16x16x16_bf16 v[32:35], a[154:155], a[10:11], v[32:35]// 0000000033F8: D3E10020 1C82159A
	v_mfma_f32_16x16x16_bf16 v[32:35], a[156:157], a[12:13], v[32:35]// 000000003400: D3E10020 1C82199C
	v_mfma_f32_16x16x16_bf16 v[32:35], a[158:159], a[14:15], v[32:35]// 000000003408: D3E10020 1C821D9E
	s_waitcnt lgkmcnt(4)                                       // 000000003410: BF8CC47F
	v_mfma_f32_16x16x16_bf16 v[32:35], a[160:161], a[16:17], v[32:35]// 000000003414: D3E10020 1C8221A0
	ds_read_b128 a[192:195], v4 offset:1536                    // 00000000341C: DBFE0600 C0000004
	ds_read_b128 a[196:199], v4 offset:1600                    // 000000003424: DBFE0640 C4000004
	v_mfma_f32_16x16x16_bf16 v[32:35], a[162:163], a[18:19], v[32:35]// 00000000342C: D3E10020 1C8225A2
	v_mfma_f32_16x16x16_bf16 v[32:35], a[164:165], a[20:21], v[32:35]// 000000003434: D3E10020 1C8229A4
	v_mfma_f32_16x16x16_bf16 v[32:35], a[166:167], a[22:23], v[32:35]// 00000000343C: D3E10020 1C822DA6
	v_mfma_f32_16x16x16_bf16 v[32:35], a[168:169], a[24:25], v[32:35]// 000000003444: D3E10020 1C8231A8
	ds_read_b128 a[200:203], v4 offset:1792                    // 00000000344C: DBFE0700 C8000004
	ds_read_b128 a[204:207], v4 offset:1856                    // 000000003454: DBFE0740 CC000004
	v_mfma_f32_16x16x16_bf16 v[32:35], a[170:171], a[26:27], v[32:35]// 00000000345C: D3E10020 1C8235AA
	v_mfma_f32_16x16x16_bf16 v[32:35], a[172:173], a[28:29], v[32:35]// 000000003464: D3E10020 1C8239AC
	v_mfma_f32_16x16x16_bf16 v[32:35], a[174:175], a[30:31], v[32:35]// 00000000346C: D3E10020 1C823DAE
	s_waitcnt lgkmcnt(4)                                       // 000000003474: BF8CC47F
	s_barrier                                                  // 000000003478: BF8A0000
	v_mfma_f32_16x16x16_bf16 v[32:35], a[176:177], a[32:33], v[32:35]// 00000000347C: D3E10020 1C8241B0
	ds_read_b128 a[208:211], v4 offset:2048                    // 000000003484: DBFE0800 D0000004
	ds_read_b128 a[212:215], v4 offset:2112                    // 00000000348C: DBFE0840 D4000004
	v_mfma_f32_16x16x16_bf16 v[32:35], a[178:179], a[34:35], v[32:35]// 000000003494: D3E10020 1C8245B2
	v_mfma_f32_16x16x16_bf16 v[32:35], a[180:181], a[36:37], v[32:35]// 00000000349C: D3E10020 1C8249B4
	v_perm_b32 v168, v22, v20, s53                             // 0000000034A4: D1ED00A8 00D62916
	v_perm_b32 v170, v22, v20, s52                             // 0000000034AC: D1ED00AA 00D22916
	v_perm_b32 v169, v26, v24, s53                             // 0000000034B4: D1ED00A9 00D6311A
	v_perm_b32 v171, v26, v24, s52                             // 0000000034BC: D1ED00AB 00D2311A
	v_mfma_f32_16x16x16_bf16 v[32:35], a[182:183], a[38:39], v[32:35]// 0000000034C4: D3E10020 1C824DB6
	buffer_load_dword v18, s[20:23], 0 offen lds               // 0000000034CC: E0511000 80050012
	s_add_u32 m0, 0, s35                                       // 0000000034D4: 807C2380
	v_mfma_f32_16x16x16_bf16 v[32:35], a[184:185], a[40:41], v[32:35]// 0000000034D8: D3E10020 1C8251B8
	ds_write_b128 v6, v[168:171] offset:45312                  // 0000000034E0: D9BEB100 0000A806
	v_mfma_f32_16x16x16_bf16 v[32:35], a[186:187], a[42:43], v[32:35]// 0000000034E8: D3E10020 1C8255BA
	buffer_load_dword v19, s[20:23], 0 offen lds               // 0000000034F0: E0511000 80050013
	s_add_u32 m0, 0x80, s34                                    // 0000000034F8: 807C22FF 00000080
	v_mfma_f32_16x16x16_bf16 v[32:35], a[188:189], a[44:45], v[32:35]// 000000003500: D3E10020 1C8259BC
	v_perm_b32 v168, v23, v21, s53                             // 000000003508: D1ED00A8 00D62B17
	v_perm_b32 v170, v23, v21, s52                             // 000000003510: D1ED00AA 00D22B17
	v_perm_b32 v169, v27, v25, s53                             // 000000003518: D1ED00A9 00D6331B
	v_perm_b32 v171, v27, v25, s52                             // 000000003520: D1ED00AB 00D2331B
	v_mfma_f32_16x16x16_bf16 v[32:35], a[190:191], a[46:47], v[32:35]// 000000003528: D3E10020 1C825DBE
	buffer_load_dword v18, s[20:23], 0 offen offset:128 lds    // 000000003530: E0511080 80050012
	s_add_u32 m0, 0x80, s35                                    // 000000003538: 807C23FF 00000080
	s_waitcnt lgkmcnt(1)                                       // 000000003540: BF8CC17F
	v_mfma_f32_16x16x16_bf16 v[32:35], a[192:193], a[48:49], v[32:35]// 000000003544: D3E10020 1C8261C0
	ds_write_b128 v6, v[168:171] offset:46336                  // 00000000354C: D9BEB500 0000A806
	v_mfma_f32_16x16x16_bf16 v[32:35], a[194:195], a[50:51], v[32:35]// 000000003554: D3E10020 1C8265C2
	buffer_load_dword v19, s[20:23], 0 offen offset:128 lds    // 00000000355C: E0511080 80050013
	s_add_u32 m0, 0x100, s34                                   // 000000003564: 807C22FF 00000100
	v_mfma_f32_16x16x16_bf16 v[32:35], a[196:197], a[52:53], v[32:35]// 00000000356C: D3E10020 1C8269C4
	v_mfma_f32_16x16x16_bf16 v[32:35], a[198:199], a[54:55], v[32:35]// 000000003574: D3E10020 1C826DC6
	buffer_load_dword v18, s[20:23], 0 offen offset:256 lds    // 00000000357C: E0511100 80050012
	s_add_u32 m0, 0x100, s35                                   // 000000003584: 807C23FF 00000100
	v_mfma_f32_16x16x16_bf16 v[32:35], a[200:201], a[56:57], v[32:35]// 00000000358C: D3E10020 1C8271C8
	v_mfma_f32_16x16x16_bf16 v[32:35], a[202:203], a[58:59], v[32:35]// 000000003594: D3E10020 1C8275CA
	buffer_load_dword v19, s[20:23], 0 offen offset:256 lds    // 00000000359C: E0511100 80050013
	s_add_u32 m0, 0x180, s34                                   // 0000000035A4: 807C22FF 00000180
	v_mfma_f32_16x16x16_bf16 v[32:35], a[204:205], a[60:61], v[32:35]// 0000000035AC: D3E10020 1C8279CC
	v_mfma_f32_16x16x16_bf16 v[32:35], a[206:207], a[62:63], v[32:35]// 0000000035B4: D3E10020 1C827DCE
	buffer_load_dword v18, s[20:23], 0 offen offset:384 lds    // 0000000035BC: E0511180 80050012
	s_add_u32 m0, 0x180, s35                                   // 0000000035C4: 807C23FF 00000180
	v_mfma_f32_16x16x16_bf16 v[32:35], a[208:209], a[64:65], v[32:35]// 0000000035CC: D3E10020 1C8281D0
	v_mfma_f32_16x16x16_bf16 v[32:35], a[210:211], a[66:67], v[32:35]// 0000000035D4: D3E10020 1C8285D2
	buffer_load_dword v19, s[20:23], 0 offen offset:384 lds    // 0000000035DC: E0511180 80050013
	s_add_u32 m0, 0x200, s34                                   // 0000000035E4: 807C22FF 00000200
	v_mfma_f32_16x16x16_bf16 v[32:35], a[212:213], a[68:69], v[32:35]// 0000000035EC: D3E10020 1C8289D4
	v_mfma_f32_16x16x16_bf16 v[32:35], a[214:215], a[70:71], v[32:35]// 0000000035F4: D3E10020 1C828DD6
	buffer_load_dword v18, s[20:23], 0 offen offset:512 lds    // 0000000035FC: E0511200 80050012
	s_add_u32 m0, 0x200, s35                                   // 000000003604: 807C23FF 00000200
	v_add_u32_e32 v8, s73, v8                                  // 00000000360C: 68101049
	s_cmp_le_i32 s83, s82                                      // 000000003610: BF055253
	s_cbranch_scc1 label_052A                                  // 000000003614: BF850024
	v_mov_b32_e32 v25, 0xff800000                              // 000000003618: 7E3202FF FF800000
	s_add_u32 s57, s82, 0                                      // 000000003620: 80398052
	v_mov_b32_e32 v24, s57                                     // 000000003624: 7E300239
	v_add_u32_e32 v24, s7, v24                                 // 000000003628: 68303007
	s_sub_u32 s56, s83, 15                                     // 00000000362C: 80B88F53
	v_lshrrev_b32_e32 v20, 4, v0                               // 000000003630: 20280084
	v_mul_i32_i24_e32 v20, 4, v20                              // 000000003634: 0C282884
	v_add_u32_e32 v20, s56, v20                                // 000000003638: 68282838
	v_add_u32_e32 v21, 1, v20                                  // 00000000363C: 682A2881
	v_add_u32_e32 v22, 2, v20                                  // 000000003640: 682C2882
	v_add_u32_e32 v23, 3, v20                                  // 000000003644: 682E2883
	v_cmp_le_u32_e64 s[38:39], v20, v24                        // 000000003648: D0CB0026 00023114
	v_add_u32_e32 v20, 64, v20                                 // 000000003650: 682828C0
	s_nop 0                                                    // 000000003654: BF800000
	v_cndmask_b32_e64 v32, v25, v32, s[38:39]                  // 000000003658: D1000020 009A4119
	v_cmp_le_u32_e64 s[38:39], v21, v24                        // 000000003660: D0CB0026 00023115
	v_add_u32_e32 v21, 64, v21                                 // 000000003668: 682A2AC0
	s_nop 0                                                    // 00000000366C: BF800000
	v_cndmask_b32_e64 v33, v25, v33, s[38:39]                  // 000000003670: D1000021 009A4319
	v_cmp_le_u32_e64 s[38:39], v22, v24                        // 000000003678: D0CB0026 00023116
	v_add_u32_e32 v22, 64, v22                                 // 000000003680: 682C2CC0
	s_nop 0                                                    // 000000003684: BF800000
	v_cndmask_b32_e64 v34, v25, v34, s[38:39]                  // 000000003688: D1000022 009A4519
	v_cmp_le_u32_e64 s[38:39], v23, v24                        // 000000003690: D0CB0026 00023117
	v_add_u32_e32 v23, 64, v23                                 // 000000003698: 682E2EC0
	s_nop 0                                                    // 00000000369C: BF800000
	v_cndmask_b32_e64 v35, v25, v35, s[38:39]                  // 0000000036A0: D1000023 009A4719

00000000000036a8 <label_052A>:
	s_waitcnt lgkmcnt(0)                                       // 0000000036A8: BF8CC07F
	s_barrier                                                  // 0000000036AC: BF8A0000
	v_max3_f32 v24, v32, v33, v32                              // 0000000036B0: D1D30018 04824320
	v_max3_f32 v24, v34, v35, v24                              // 0000000036B8: D1D30018 04624722
	ds_write_b32 v3, v24 offset:53504                          // 0000000036C0: D81AD100 00001803
	buffer_load_dword v19, s[20:23], 0 offen offset:512 lds    // 0000000036C8: E0511200 80050013
	s_add_u32 m0, 0x280, s34                                   // 0000000036D0: 807C22FF 00000280
	buffer_load_dword v18, s[20:23], 0 offen offset:640 lds    // 0000000036D8: E0511280 80050012
	s_add_u32 m0, 0x280, s35                                   // 0000000036E0: 807C23FF 00000280
	s_waitcnt lgkmcnt(0)                                       // 0000000036E8: BF8CC07F
	ds_read_b32 v20, v2 offset:53504                           // 0000000036EC: D86CD100 14000002
	ds_read_b32 v21, v2 offset:53568                           // 0000000036F4: D86CD140 15000002
	ds_read_b32 v22, v2 offset:53632                           // 0000000036FC: D86CD180 16000002
	ds_read_b32 v23, v2 offset:53696                           // 000000003704: D86CD1C0 17000002
	buffer_load_dword v19, s[20:23], 0 offen offset:640 lds    // 00000000370C: E0511280 80050013
	s_add_u32 m0, 0x300, s34                                   // 000000003714: 807C22FF 00000300
	buffer_load_dword v18, s[20:23], 0 offen offset:768 lds    // 00000000371C: E0511300 80050012
	s_add_u32 m0, 0x300, s35                                   // 000000003724: 807C23FF 00000300
	buffer_load_dword v19, s[20:23], 0 offen offset:768 lds    // 00000000372C: E0511300 80050013
	s_add_u32 m0, 0x380, s34                                   // 000000003734: 807C22FF 00000380
	s_waitcnt lgkmcnt(0)                                       // 00000000373C: BF8CC07F
	v_max3_f32 v24, v20, v21, v24                              // 000000003740: D1D30018 04622B14
	v_max3_f32 v24, v22, v23, v24                              // 000000003748: D1D30018 04622F16
	buffer_load_dword v18, s[20:23], 0 offen offset:896 lds    // 000000003750: E0511380 80050012
	s_add_u32 m0, 0x380, s35                                   // 000000003758: 807C23FF 00000380
	buffer_load_dword v19, s[20:23], 0 offen offset:896 lds    // 000000003760: E0511380 80050013
	s_add_u32 m0, 0x400, s34                                   // 000000003768: 807C22FF 00000400
	ds_read_b128 a[144:147], v7 offset:37120                   // 000000003770: DBFE9100 90000007
	ds_read_b128 a[148:151], v7 offset:38144                   // 000000003778: DBFE9500 94000007
	buffer_load_dword v18, s[20:23], 0 offen offset:1024 lds   // 000000003780: E0511400 80050012
	s_add_u32 m0, 0x400, s35                                   // 000000003788: 807C23FF 00000400
	ds_read_b128 a[152:155], v7 offset:39168                   // 000000003790: DBFE9900 98000007
	ds_read_b128 a[156:159], v7 offset:40192                   // 000000003798: DBFE9D00 9C000007
	buffer_load_dword v19, s[20:23], 0 offen offset:1024 lds   // 0000000037A0: E0511400 80050013
	s_add_u32 m0, 0x480, s34                                   // 0000000037A8: 807C22FF 00000480
	ds_read_b128 a[160:163], v7 offset:41216                   // 0000000037B0: DBFEA100 A0000007
	ds_read_b128 a[164:167], v7 offset:42240                   // 0000000037B8: DBFEA500 A4000007
	ds_read_b128 a[168:171], v7 offset:43264                   // 0000000037C0: DBFEA900 A8000007
	ds_read_b128 a[172:175], v7 offset:44288                   // 0000000037C8: DBFEAD00 AC000007
	v_mov_b32_e32 v25, 0xff7fffff                              // 0000000037D0: 7E3202FF FF7FFFFF
	v_cmp_eq_u32_e64 s[38:39], v25, v12                        // 0000000037D8: D0CA0026 00021919
	v_max_f32_e32 v20, v24, v12                                // 0000000037E0: 16281918
	v_sub_f32_e32 v16, v12, v20                                // 0000000037E4: 0420290C
	v_cndmask_b32_e64 v16, v16, 0, s[38:39]                    // 0000000037E8: D1000010 00990110
	v_mov_b32_e32 v12, v20                                     // 0000000037F0: 7E180314
	v_mul_f32_e32 v21, s5, v20                                 // 0000000037F4: 0A2A2805
	v_mul_f32_e32 v16, s5, v16                                 // 0000000037F8: 0A202005
	v_exp_f32_e32 v16, v16                                     // 0000000037FC: 7E204110
	v_fma_f32 v32, v32, s5, -v21                               // 000000003800: D1CB0020 84540B20
	v_fma_f32 v33, v33, s5, -v21                               // 000000003808: D1CB0021 84540B21
	v_fma_f32 v34, v34, s5, -v21                               // 000000003810: D1CB0022 84540B22
	v_fma_f32 v35, v35, s5, -v21                               // 000000003818: D1CB0023 84540B23
	v_exp_f32_e32 v32, v32                                     // 000000003820: 7E404120
	v_exp_f32_e32 v33, v33                                     // 000000003824: 7E424121
	v_exp_f32_e32 v34, v34                                     // 000000003828: 7E444122
	v_exp_f32_e32 v35, v35                                     // 00000000382C: 7E464123
	v_mul_f32_e32 v14, v16, v14                                // 000000003830: 0A1C1D10
	v_mov_b32_e32 v22, v32                                     // 000000003834: 7E2C0320
	v_add_f32_e32 v22, v33, v22                                // 000000003838: 022C2D21
	v_add_f32_e32 v22, v34, v22                                // 00000000383C: 022C2D22
	v_add_f32_e32 v22, v35, v22                                // 000000003840: 022C2D23
	v_add_f32_e32 v14, v22, v14                                // 000000003844: 021C1D16
	v_mov_b32_e32 v29, 0xffff0000                              // 000000003848: 7E3A02FF FFFF0000
	v_mov_b32_e32 v30, 0x7fff0000                              // 000000003850: 7E3C02FF 7FFF0000
	v_mov_b32_e32 v31, 0x7fff                                  // 000000003858: 7E3E02FF 00007FFF
	v_cmp_u_f32_e64 s[38:39], v32, v32                         // 000000003860: D0480026 00024120
	v_add3_u32 v28, v32, v31, 1                                // 000000003868: D1FF001C 02063F20
	v_cndmask_b32_e64 v20, v28, v30, s[38:39]                  // 000000003870: D1000014 009A3D1C
	v_cmp_u_f32_e64 s[38:39], v33, v33                         // 000000003878: D0480026 00024321
	v_add3_u32 v28, v33, v31, 1                                // 000000003880: D1FF001C 02063F21
	v_cndmask_b32_e64 v21, v28, v30, s[38:39]                  // 000000003888: D1000015 009A3D1C
	v_perm_b32 v32, v21, v20, s52                              // 000000003890: D1ED0020 00D22915
	v_cmp_u_f32_e64 s[38:39], v34, v34                         // 000000003898: D0480026 00024522
	v_add3_u32 v28, v34, v31, 1                                // 0000000038A0: D1FF001C 02063F22
	v_cndmask_b32_e64 v20, v28, v30, s[38:39]                  // 0000000038A8: D1000014 009A3D1C
	v_cmp_u_f32_e64 s[38:39], v35, v35                         // 0000000038B0: D0480026 00024723
	v_add3_u32 v28, v35, v31, 1                                // 0000000038B8: D1FF001C 02063F23
	v_cndmask_b32_e64 v21, v28, v30, s[38:39]                  // 0000000038C0: D1000015 009A3D1C
	v_perm_b32 v33, v21, v20, s52                              // 0000000038C8: D1ED0021 00D22915
	s_nop 2                                                    // 0000000038D0: BF800002
	s_add_u32 s83, s84, s83                                    // 0000000038D4: 80535354
	s_nop 0                                                    // 0000000038D8: BF800000
	v_mul_u32_u24_dpp v18, v11, v9 row_newbcast:0 row_mask:0xf bank_mask:0xf// 0000000038DC: 102412FA FF01500B
	v_mul_u32_u24_dpp v19, v11, v9 row_newbcast:8 row_mask:0xf bank_mask:0xf// 0000000038E4: 102612FA FF01580B
	v_add_u32_e32 v18, v18, v1                                 // 0000000038EC: 68240312
	v_add_u32_e32 v19, v19, v1                                 // 0000000038F0: 68260313
	s_mov_b32 m0, s36                                          // 0000000038F4: BEFC0024
	v_mov_b32_e32 v22, v16                                     // 0000000038F8: 7E2C0310
	v_mov_b32_e32 v23, v16                                     // 0000000038FC: 7E2E0310
	v_pk_mul_f32 v[40:41], v[22:23], v[40:41]                  // 000000003900: D3B14028 18025116
	v_pk_mul_f32 v[42:43], v[22:23], v[42:43]                  // 000000003908: D3B1402A 18025516
	v_pk_mul_f32 v[44:45], v[22:23], v[44:45]                  // 000000003910: D3B1402C 18025916
	v_pk_mul_f32 v[46:47], v[22:23], v[46:47]                  // 000000003918: D3B1402E 18025D16
	v_pk_mul_f32 v[48:49], v[22:23], v[48:49]                  // 000000003920: D3B14030 18026116
	v_pk_mul_f32 v[50:51], v[22:23], v[50:51]                  // 000000003928: D3B14032 18026516
	v_pk_mul_f32 v[52:53], v[22:23], v[52:53]                  // 000000003930: D3B14034 18026916
	v_pk_mul_f32 v[54:55], v[22:23], v[54:55]                  // 000000003938: D3B14036 18026D16
	v_pk_mul_f32 v[56:57], v[22:23], v[56:57]                  // 000000003940: D3B14038 18027116
	v_pk_mul_f32 v[58:59], v[22:23], v[58:59]                  // 000000003948: D3B1403A 18027516
	v_pk_mul_f32 v[60:61], v[22:23], v[60:61]                  // 000000003950: D3B1403C 18027916
	v_pk_mul_f32 v[62:63], v[22:23], v[62:63]                  // 000000003958: D3B1403E 18027D16
	v_pk_mul_f32 v[64:65], v[22:23], v[64:65]                  // 000000003960: D3B14040 18028116
	v_pk_mul_f32 v[66:67], v[22:23], v[66:67]                  // 000000003968: D3B14042 18028516
	v_pk_mul_f32 v[68:69], v[22:23], v[68:69]                  // 000000003970: D3B14044 18028916
	v_pk_mul_f32 v[70:71], v[22:23], v[70:71]                  // 000000003978: D3B14046 18028D16
	v_pk_mul_f32 v[72:73], v[22:23], v[72:73]                  // 000000003980: D3B14048 18029116
	v_pk_mul_f32 v[74:75], v[22:23], v[74:75]                  // 000000003988: D3B1404A 18029516
	v_pk_mul_f32 v[76:77], v[22:23], v[76:77]                  // 000000003990: D3B1404C 18029916
	v_pk_mul_f32 v[78:79], v[22:23], v[78:79]                  // 000000003998: D3B1404E 18029D16
	v_pk_mul_f32 v[80:81], v[22:23], v[80:81]                  // 0000000039A0: D3B14050 1802A116
	v_pk_mul_f32 v[82:83], v[22:23], v[82:83]                  // 0000000039A8: D3B14052 1802A516
	v_pk_mul_f32 v[84:85], v[22:23], v[84:85]                  // 0000000039B0: D3B14054 1802A916
	v_pk_mul_f32 v[86:87], v[22:23], v[86:87]                  // 0000000039B8: D3B14056 1802AD16
	v_pk_mul_f32 v[88:89], v[22:23], v[88:89]                  // 0000000039C0: D3B14058 1802B116
	v_pk_mul_f32 v[90:91], v[22:23], v[90:91]                  // 0000000039C8: D3B1405A 1802B516
	v_pk_mul_f32 v[92:93], v[22:23], v[92:93]                  // 0000000039D0: D3B1405C 1802B916
	v_pk_mul_f32 v[94:95], v[22:23], v[94:95]                  // 0000000039D8: D3B1405E 1802BD16
	v_pk_mul_f32 v[96:97], v[22:23], v[96:97]                  // 0000000039E0: D3B14060 1802C116
	v_pk_mul_f32 v[98:99], v[22:23], v[98:99]                  // 0000000039E8: D3B14062 1802C516
	v_pk_mul_f32 v[100:101], v[22:23], v[100:101]              // 0000000039F0: D3B14064 1802C916
	v_pk_mul_f32 v[102:103], v[22:23], v[102:103]              // 0000000039F8: D3B14066 1802CD16
	v_pk_mul_f32 v[104:105], v[22:23], v[104:105]              // 000000003A00: D3B14068 1802D116
	v_pk_mul_f32 v[106:107], v[22:23], v[106:107]              // 000000003A08: D3B1406A 1802D516
	v_pk_mul_f32 v[108:109], v[22:23], v[108:109]              // 000000003A10: D3B1406C 1802D916
	v_pk_mul_f32 v[110:111], v[22:23], v[110:111]              // 000000003A18: D3B1406E 1802DD16
	v_pk_mul_f32 v[112:113], v[22:23], v[112:113]              // 000000003A20: D3B14070 1802E116
	v_pk_mul_f32 v[114:115], v[22:23], v[114:115]              // 000000003A28: D3B14072 1802E516
	v_pk_mul_f32 v[116:117], v[22:23], v[116:117]              // 000000003A30: D3B14074 1802E916
	v_pk_mul_f32 v[118:119], v[22:23], v[118:119]              // 000000003A38: D3B14076 1802ED16
	v_pk_mul_f32 v[120:121], v[22:23], v[120:121]              // 000000003A40: D3B14078 1802F116
	v_pk_mul_f32 v[122:123], v[22:23], v[122:123]              // 000000003A48: D3B1407A 1802F516
	v_pk_mul_f32 v[124:125], v[22:23], v[124:125]              // 000000003A50: D3B1407C 1802F916
	v_pk_mul_f32 v[126:127], v[22:23], v[126:127]              // 000000003A58: D3B1407E 1802FD16
	v_pk_mul_f32 v[128:129], v[22:23], v[128:129]              // 000000003A60: D3B14080 18030116
	v_pk_mul_f32 v[130:131], v[22:23], v[130:131]              // 000000003A68: D3B14082 18030516
	v_pk_mul_f32 v[132:133], v[22:23], v[132:133]              // 000000003A70: D3B14084 18030916
	v_pk_mul_f32 v[134:135], v[22:23], v[134:135]              // 000000003A78: D3B14086 18030D16
	v_pk_mul_f32 v[136:137], v[22:23], v[136:137]              // 000000003A80: D3B14088 18031116
	v_pk_mul_f32 v[138:139], v[22:23], v[138:139]              // 000000003A88: D3B1408A 18031516
	v_pk_mul_f32 v[140:141], v[22:23], v[140:141]              // 000000003A90: D3B1408C 18031916
	v_pk_mul_f32 v[142:143], v[22:23], v[142:143]              // 000000003A98: D3B1408E 18031D16
	v_pk_mul_f32 v[144:145], v[22:23], v[144:145]              // 000000003AA0: D3B14090 18032116
	v_pk_mul_f32 v[146:147], v[22:23], v[146:147]              // 000000003AA8: D3B14092 18032516
	v_pk_mul_f32 v[148:149], v[22:23], v[148:149]              // 000000003AB0: D3B14094 18032916
	v_pk_mul_f32 v[150:151], v[22:23], v[150:151]              // 000000003AB8: D3B14096 18032D16
	v_pk_mul_f32 v[152:153], v[22:23], v[152:153]              // 000000003AC0: D3B14098 18033116
	v_pk_mul_f32 v[154:155], v[22:23], v[154:155]              // 000000003AC8: D3B1409A 18033516
	v_pk_mul_f32 v[156:157], v[22:23], v[156:157]              // 000000003AD0: D3B1409C 18033916
	v_pk_mul_f32 v[158:159], v[22:23], v[158:159]              // 000000003AD8: D3B1409E 18033D16
	v_pk_mul_f32 v[160:161], v[22:23], v[160:161]              // 000000003AE0: D3B140A0 18034116
	v_pk_mul_f32 v[162:163], v[22:23], v[162:163]              // 000000003AE8: D3B140A2 18034516
	v_pk_mul_f32 v[164:165], v[22:23], v[164:165]              // 000000003AF0: D3B140A4 18034916
	v_pk_mul_f32 v[166:167], v[22:23], v[166:167]              // 000000003AF8: D3B140A6 18034D16
	s_waitcnt lgkmcnt(0)                                       // 000000003B00: BF8CC07F
	v_mfma_f32_16x16x16_bf16 v[40:43], a[144:145], v[32:33], v[40:43]// 000000003B04: D3E10028 0CA24190
	ds_read_b128 a[176:179], v7 offset:45312                   // 000000003B0C: DBFEB100 B0000007
	ds_read_b128 a[180:183], v7 offset:46336                   // 000000003B14: DBFEB500 B4000007
	v_mfma_f32_16x16x16_bf16 v[44:47], a[146:147], v[32:33], v[44:47]// 000000003B1C: D3E1002C 0CB24192
	v_mfma_f32_16x16x16_bf16 v[48:51], a[148:149], v[32:33], v[48:51]// 000000003B24: D3E10030 0CC24194
	v_mfma_f32_16x16x16_bf16 v[52:55], a[150:151], v[32:33], v[52:55]// 000000003B2C: D3E10034 0CD24196
	v_mfma_f32_16x16x16_bf16 v[56:59], a[152:153], v[32:33], v[56:59]// 000000003B34: D3E10038 0CE24198
	ds_read_b128 a[184:187], v7 offset:47360                   // 000000003B3C: DBFEB900 B8000007
	ds_read_b128 a[188:191], v7 offset:48384                   // 000000003B44: DBFEBD00 BC000007
	v_mfma_f32_16x16x16_bf16 v[60:63], a[154:155], v[32:33], v[60:63]// 000000003B4C: D3E1003C 0CF2419A
	v_mfma_f32_16x16x16_bf16 v[64:67], a[156:157], v[32:33], v[64:67]// 000000003B54: D3E10040 0D02419C
	v_mfma_f32_16x16x16_bf16 v[68:71], a[158:159], v[32:33], v[68:71]// 000000003B5C: D3E10044 0D12419E
	v_mfma_f32_16x16x16_bf16 v[72:75], a[160:161], v[32:33], v[72:75]// 000000003B64: D3E10048 0D2241A0
	ds_read_b128 a[192:195], v7 offset:49408                   // 000000003B6C: DBFEC100 C0000007
	ds_read_b128 a[196:199], v7 offset:50432                   // 000000003B74: DBFEC500 C4000007
	v_mfma_f32_16x16x16_bf16 v[76:79], a[162:163], v[32:33], v[76:79]// 000000003B7C: D3E1004C 0D3241A2
	v_mfma_f32_16x16x16_bf16 v[80:83], a[164:165], v[32:33], v[80:83]// 000000003B84: D3E10050 0D4241A4
	v_mfma_f32_16x16x16_bf16 v[84:87], a[166:167], v[32:33], v[84:87]// 000000003B8C: D3E10054 0D5241A6
	v_mfma_f32_16x16x16_bf16 v[88:91], a[168:169], v[32:33], v[88:91]// 000000003B94: D3E10058 0D6241A8
	ds_read_b128 a[200:203], v7 offset:51456                   // 000000003B9C: DBFEC900 C8000007
	ds_read_b128 a[204:207], v7 offset:52480                   // 000000003BA4: DBFECD00 CC000007
	v_mfma_f32_16x16x16_bf16 v[92:95], a[170:171], v[32:33], v[92:95]// 000000003BAC: D3E1005C 0D7241AA
	v_mfma_f32_16x16x16_bf16 v[96:99], a[172:173], v[32:33], v[96:99]// 000000003BB4: D3E10060 0D8241AC
	v_mfma_f32_16x16x16_bf16 v[100:103], a[174:175], v[32:33], v[100:103]// 000000003BBC: D3E10064 0D9241AE
	s_waitcnt lgkmcnt(4)                                       // 000000003BC4: BF8CC47F
	v_mfma_f32_16x16x16_bf16 v[104:107], a[176:177], v[32:33], v[104:107]// 000000003BC8: D3E10068 0DA241B0
	v_mfma_f32_16x16x16_bf16 v[108:111], a[178:179], v[32:33], v[108:111]// 000000003BD0: D3E1006C 0DB241B2
	v_mfma_f32_16x16x16_bf16 v[112:115], a[180:181], v[32:33], v[112:115]// 000000003BD8: D3E10070 0DC241B4
	s_waitcnt vmcnt(18) lgkmcnt(0)                             // 000000003BE0: BF8C4072
	s_barrier                                                  // 000000003BE4: BF8A0000
	v_mfma_f32_16x16x16_bf16 v[116:119], a[182:183], v[32:33], v[116:119]// 000000003BE8: D3E10074 0DD241B6
	ds_read_b64 v[20:21], v5 offset:18560                      // 000000003BF0: D8EC4880 14000005
	ds_read_b64 v[22:23], v5 offset:23200                      // 000000003BF8: D8EC5AA0 16000005
	v_mfma_f32_16x16x16_bf16 v[120:123], a[184:185], v[32:33], v[120:123]// 000000003C00: D3E10078 0DE241B8
	ds_read_b64 v[24:25], v5 offset:27840                      // 000000003C08: D8EC6CC0 18000005
	ds_read_b64 v[26:27], v5 offset:32480                      // 000000003C10: D8EC7EE0 1A000005
	v_mfma_f32_16x16x16_bf16 v[124:127], a[186:187], v[32:33], v[124:127]// 000000003C18: D3E1007C 0DF241BA
	ds_read_b128 a[144:147], v4 offset:18560                   // 000000003C20: DBFE4880 90000004
	v_mfma_f32_16x16x16_bf16 v[128:131], a[188:189], v[32:33], v[128:131]// 000000003C28: D3E10080 0E0241BC
	ds_read_b128 a[148:151], v4 offset:18624                   // 000000003C30: DBFE48C0 94000004
	v_mfma_f32_16x16x16_bf16 v[132:135], a[190:191], v[32:33], v[132:135]// 000000003C38: D3E10084 0E1241BE
	ds_read_b128 a[152:155], v4 offset:18816                   // 000000003C40: DBFE4980 98000004
	v_mfma_f32_16x16x16_bf16 v[136:139], a[192:193], v[32:33], v[136:139]// 000000003C48: D3E10088 0E2241C0
	ds_read_b128 a[156:159], v4 offset:18880                   // 000000003C50: DBFE49C0 9C000004
	v_mfma_f32_16x16x16_bf16 v[140:143], a[194:195], v[32:33], v[140:143]// 000000003C58: D3E1008C 0E3241C2
	ds_read_b128 a[160:163], v4 offset:19072                   // 000000003C60: DBFE4A80 A0000004
	v_mfma_f32_16x16x16_bf16 v[144:147], a[196:197], v[32:33], v[144:147]// 000000003C68: D3E10090 0E4241C4
	ds_read_b128 a[164:167], v4 offset:19136                   // 000000003C70: DBFE4AC0 A4000004
	v_mfma_f32_16x16x16_bf16 v[148:151], a[198:199], v[32:33], v[148:151]// 000000003C78: D3E10094 0E5241C6
	ds_read_b128 a[168:171], v4 offset:19328                   // 000000003C80: DBFE4B80 A8000004
	v_mfma_f32_16x16x16_bf16 v[152:155], a[200:201], v[32:33], v[152:155]// 000000003C88: D3E10098 0E6241C8
	ds_read_b128 a[172:175], v4 offset:19392                   // 000000003C90: DBFE4BC0 AC000004
	v_mfma_f32_16x16x16_bf16 v[156:159], a[202:203], v[32:33], v[156:159]// 000000003C98: D3E1009C 0E7241CA
	s_waitcnt lgkmcnt(8)                                       // 000000003CA0: BF8CC87F
	v_perm_b32 v168, v22, v20, s53                             // 000000003CA4: D1ED00A8 00D62916
	v_perm_b32 v170, v22, v20, s52                             // 000000003CAC: D1ED00AA 00D22916
	v_perm_b32 v169, v26, v24, s53                             // 000000003CB4: D1ED00A9 00D6311A
	v_perm_b32 v171, v26, v24, s52                             // 000000003CBC: D1ED00AB 00D2311A
	v_mfma_f32_16x16x16_bf16 v[160:163], a[204:205], v[32:33], v[160:163]// 000000003CC4: D3E100A0 0E8241CC
	ds_write_b128 v6, v[168:171] offset:37120                  // 000000003CCC: D9BE9100 0000A806
	v_perm_b32 v168, v23, v21, s53                             // 000000003CD4: D1ED00A8 00D62B17
	v_perm_b32 v170, v23, v21, s52                             // 000000003CDC: D1ED00AA 00D22B17
	v_perm_b32 v169, v27, v25, s53                             // 000000003CE4: D1ED00A9 00D6331B
	v_perm_b32 v171, v27, v25, s52                             // 000000003CEC: D1ED00AB 00D2331B
	v_mfma_f32_16x16x16_bf16 v[164:167], a[206:207], v[32:33], v[164:167]// 000000003CF4: D3E100A4 0E9241CE
	ds_write_b128 v6, v[168:171] offset:38144                  // 000000003CFC: D9BE9500 0000A806
	ds_read_b64 v[20:21], v5 offset:19584                      // 000000003D04: D8EC4C80 14000005
	ds_read_b64 v[22:23], v5 offset:24224                      // 000000003D0C: D8EC5EA0 16000005
	ds_read_b64 v[24:25], v5 offset:28864                      // 000000003D14: D8EC70C0 18000005
	ds_read_b64 v[26:27], v5 offset:33504                      // 000000003D1C: D8EC82E0 1A000005
	s_nop 0                                                    // 000000003D24: BF800000
	s_addk_i32 s70, 0x1                                        // 000000003D28: B7460001
	s_cmp_lt_i32 s70, s71                                      // 000000003D2C: BF044746
	s_cbranch_scc0 label_0932                                  // 000000003D30: BF840265
	s_waitcnt lgkmcnt(4)                                       // 000000003D34: BF8CC47F
	v_mfma_f32_16x16x16_bf16 v[32:35], a[144:145], a[0:1], 0   // 000000003D38: D3E10020 1A020190
	ds_read_b128 a[176:179], v4 offset:19584                   // 000000003D40: DBFE4C80 B0000004
	ds_read_b128 a[180:183], v4 offset:19648                   // 000000003D48: DBFE4CC0 B4000004
	v_mfma_f32_16x16x16_bf16 v[32:35], a[146:147], a[2:3], v[32:35]// 000000003D50: D3E10020 1C820592
	buffer_load_dword v11, v8, s[24:27], 0 offen               // 000000003D58: E0501000 80060B08
	v_mfma_f32_16x16x16_bf16 v[32:35], a[148:149], a[4:5], v[32:35]// 000000003D60: D3E10020 1C820994
	v_mfma_f32_16x16x16_bf16 v[32:35], a[150:151], a[6:7], v[32:35]// 000000003D68: D3E10020 1C820D96
	v_mfma_f32_16x16x16_bf16 v[32:35], a[152:153], a[8:9], v[32:35]// 000000003D70: D3E10020 1C821198
	ds_read_b128 a[184:187], v4 offset:19840                   // 000000003D78: DBFE4D80 B8000004
	ds_read_b128 a[188:191], v4 offset:19904                   // 000000003D80: DBFE4DC0 BC000004
	v_mfma_f32_16x16x16_bf16 v[32:35], a[154:155], a[10:11], v[32:35]// 000000003D88: D3E10020 1C82159A
	v_mfma_f32_16x16x16_bf16 v[32:35], a[156:157], a[12:13], v[32:35]// 000000003D90: D3E10020 1C82199C
	v_mfma_f32_16x16x16_bf16 v[32:35], a[158:159], a[14:15], v[32:35]// 000000003D98: D3E10020 1C821D9E
	s_waitcnt lgkmcnt(4)                                       // 000000003DA0: BF8CC47F
	v_mfma_f32_16x16x16_bf16 v[32:35], a[160:161], a[16:17], v[32:35]// 000000003DA4: D3E10020 1C8221A0
	ds_read_b128 a[192:195], v4 offset:20096                   // 000000003DAC: DBFE4E80 C0000004
	ds_read_b128 a[196:199], v4 offset:20160                   // 000000003DB4: DBFE4EC0 C4000004
	v_mfma_f32_16x16x16_bf16 v[32:35], a[162:163], a[18:19], v[32:35]// 000000003DBC: D3E10020 1C8225A2
	v_mfma_f32_16x16x16_bf16 v[32:35], a[164:165], a[20:21], v[32:35]// 000000003DC4: D3E10020 1C8229A4
	v_mfma_f32_16x16x16_bf16 v[32:35], a[166:167], a[22:23], v[32:35]// 000000003DCC: D3E10020 1C822DA6
	v_mfma_f32_16x16x16_bf16 v[32:35], a[168:169], a[24:25], v[32:35]// 000000003DD4: D3E10020 1C8231A8
	ds_read_b128 a[200:203], v4 offset:20352                   // 000000003DDC: DBFE4F80 C8000004
	ds_read_b128 a[204:207], v4 offset:20416                   // 000000003DE4: DBFE4FC0 CC000004
	v_mfma_f32_16x16x16_bf16 v[32:35], a[170:171], a[26:27], v[32:35]// 000000003DEC: D3E10020 1C8235AA
	v_mfma_f32_16x16x16_bf16 v[32:35], a[172:173], a[28:29], v[32:35]// 000000003DF4: D3E10020 1C8239AC
	v_mfma_f32_16x16x16_bf16 v[32:35], a[174:175], a[30:31], v[32:35]// 000000003DFC: D3E10020 1C823DAE
	s_waitcnt lgkmcnt(4)                                       // 000000003E04: BF8CC47F
	s_barrier                                                  // 000000003E08: BF8A0000
	v_mfma_f32_16x16x16_bf16 v[32:35], a[176:177], a[32:33], v[32:35]// 000000003E0C: D3E10020 1C8241B0
	ds_read_b128 a[208:211], v4 offset:20608                   // 000000003E14: DBFE5080 D0000004
	ds_read_b128 a[212:215], v4 offset:20672                   // 000000003E1C: DBFE50C0 D4000004
	v_mfma_f32_16x16x16_bf16 v[32:35], a[178:179], a[34:35], v[32:35]// 000000003E24: D3E10020 1C8245B2
	v_mfma_f32_16x16x16_bf16 v[32:35], a[180:181], a[36:37], v[32:35]// 000000003E2C: D3E10020 1C8249B4
	v_perm_b32 v168, v22, v20, s53                             // 000000003E34: D1ED00A8 00D62916
	v_perm_b32 v170, v22, v20, s52                             // 000000003E3C: D1ED00AA 00D22916
	v_perm_b32 v169, v26, v24, s53                             // 000000003E44: D1ED00A9 00D6311A
	v_perm_b32 v171, v26, v24, s52                             // 000000003E4C: D1ED00AB 00D2311A
	v_mfma_f32_16x16x16_bf16 v[32:35], a[182:183], a[38:39], v[32:35]// 000000003E54: D3E10020 1C824DB6
	buffer_load_dword v18, s[20:23], 0 offen lds               // 000000003E5C: E0511000 80050012
	s_add_u32 m0, 0, s37                                       // 000000003E64: 807C2580
	v_mfma_f32_16x16x16_bf16 v[32:35], a[184:185], a[40:41], v[32:35]// 000000003E68: D3E10020 1C8251B8
	ds_write_b128 v6, v[168:171] offset:45312                  // 000000003E70: D9BEB100 0000A806
	v_mfma_f32_16x16x16_bf16 v[32:35], a[186:187], a[42:43], v[32:35]// 000000003E78: D3E10020 1C8255BA
	buffer_load_dword v19, s[20:23], 0 offen lds               // 000000003E80: E0511000 80050013
	s_add_u32 m0, 0x80, s36                                    // 000000003E88: 807C24FF 00000080
	v_mfma_f32_16x16x16_bf16 v[32:35], a[188:189], a[44:45], v[32:35]// 000000003E90: D3E10020 1C8259BC
	v_perm_b32 v168, v23, v21, s53                             // 000000003E98: D1ED00A8 00D62B17
	v_perm_b32 v170, v23, v21, s52                             // 000000003EA0: D1ED00AA 00D22B17
	v_perm_b32 v169, v27, v25, s53                             // 000000003EA8: D1ED00A9 00D6331B
	v_perm_b32 v171, v27, v25, s52                             // 000000003EB0: D1ED00AB 00D2331B
	v_mfma_f32_16x16x16_bf16 v[32:35], a[190:191], a[46:47], v[32:35]// 000000003EB8: D3E10020 1C825DBE
	buffer_load_dword v18, s[20:23], 0 offen offset:128 lds    // 000000003EC0: E0511080 80050012
	s_add_u32 m0, 0x80, s37                                    // 000000003EC8: 807C25FF 00000080
	s_waitcnt lgkmcnt(1)                                       // 000000003ED0: BF8CC17F
	v_mfma_f32_16x16x16_bf16 v[32:35], a[192:193], a[48:49], v[32:35]// 000000003ED4: D3E10020 1C8261C0
	ds_write_b128 v6, v[168:171] offset:46336                  // 000000003EDC: D9BEB500 0000A806
	v_mfma_f32_16x16x16_bf16 v[32:35], a[194:195], a[50:51], v[32:35]// 000000003EE4: D3E10020 1C8265C2
	buffer_load_dword v19, s[20:23], 0 offen offset:128 lds    // 000000003EEC: E0511080 80050013
	s_add_u32 m0, 0x100, s36                                   // 000000003EF4: 807C24FF 00000100
	v_mfma_f32_16x16x16_bf16 v[32:35], a[196:197], a[52:53], v[32:35]// 000000003EFC: D3E10020 1C8269C4
	v_mfma_f32_16x16x16_bf16 v[32:35], a[198:199], a[54:55], v[32:35]// 000000003F04: D3E10020 1C826DC6
	buffer_load_dword v18, s[20:23], 0 offen offset:256 lds    // 000000003F0C: E0511100 80050012
	s_add_u32 m0, 0x100, s37                                   // 000000003F14: 807C25FF 00000100
	v_mfma_f32_16x16x16_bf16 v[32:35], a[200:201], a[56:57], v[32:35]// 000000003F1C: D3E10020 1C8271C8
	v_mfma_f32_16x16x16_bf16 v[32:35], a[202:203], a[58:59], v[32:35]// 000000003F24: D3E10020 1C8275CA
	buffer_load_dword v19, s[20:23], 0 offen offset:256 lds    // 000000003F2C: E0511100 80050013
	s_add_u32 m0, 0x180, s36                                   // 000000003F34: 807C24FF 00000180
	v_mfma_f32_16x16x16_bf16 v[32:35], a[204:205], a[60:61], v[32:35]// 000000003F3C: D3E10020 1C8279CC
	v_mfma_f32_16x16x16_bf16 v[32:35], a[206:207], a[62:63], v[32:35]// 000000003F44: D3E10020 1C827DCE
	buffer_load_dword v18, s[20:23], 0 offen offset:384 lds    // 000000003F4C: E0511180 80050012
	s_add_u32 m0, 0x180, s37                                   // 000000003F54: 807C25FF 00000180
	v_mfma_f32_16x16x16_bf16 v[32:35], a[208:209], a[64:65], v[32:35]// 000000003F5C: D3E10020 1C8281D0
	v_mfma_f32_16x16x16_bf16 v[32:35], a[210:211], a[66:67], v[32:35]// 000000003F64: D3E10020 1C8285D2
	buffer_load_dword v19, s[20:23], 0 offen offset:384 lds    // 000000003F6C: E0511180 80050013
	s_add_u32 m0, 0x200, s36                                   // 000000003F74: 807C24FF 00000200
	v_mfma_f32_16x16x16_bf16 v[32:35], a[212:213], a[68:69], v[32:35]// 000000003F7C: D3E10020 1C8289D4
	v_mfma_f32_16x16x16_bf16 v[32:35], a[214:215], a[70:71], v[32:35]// 000000003F84: D3E10020 1C828DD6
	buffer_load_dword v18, s[20:23], 0 offen offset:512 lds    // 000000003F8C: E0511200 80050012
	s_add_u32 m0, 0x200, s37                                   // 000000003F94: 807C25FF 00000200
	v_add_u32_e32 v8, s73, v8                                  // 000000003F9C: 68101049
	s_cmp_le_i32 s83, s82                                      // 000000003FA0: BF055253
	s_cbranch_scc1 label_078E                                  // 000000003FA4: BF850024
	v_mov_b32_e32 v25, 0xff800000                              // 000000003FA8: 7E3202FF FF800000
	s_add_u32 s57, s82, 0                                      // 000000003FB0: 80398052
	v_mov_b32_e32 v24, s57                                     // 000000003FB4: 7E300239
	v_add_u32_e32 v24, s7, v24                                 // 000000003FB8: 68303007
	s_sub_u32 s56, s83, 15                                     // 000000003FBC: 80B88F53
	v_lshrrev_b32_e32 v20, 4, v0                               // 000000003FC0: 20280084
	v_mul_i32_i24_e32 v20, 4, v20                              // 000000003FC4: 0C282884
	v_add_u32_e32 v20, s56, v20                                // 000000003FC8: 68282838
	v_add_u32_e32 v21, 1, v20                                  // 000000003FCC: 682A2881
	v_add_u32_e32 v22, 2, v20                                  // 000000003FD0: 682C2882
	v_add_u32_e32 v23, 3, v20                                  // 000000003FD4: 682E2883
	v_cmp_le_u32_e64 s[38:39], v20, v24                        // 000000003FD8: D0CB0026 00023114
	v_add_u32_e32 v20, 64, v20                                 // 000000003FE0: 682828C0
	s_nop 0                                                    // 000000003FE4: BF800000
	v_cndmask_b32_e64 v32, v25, v32, s[38:39]                  // 000000003FE8: D1000020 009A4119
	v_cmp_le_u32_e64 s[38:39], v21, v24                        // 000000003FF0: D0CB0026 00023115
	v_add_u32_e32 v21, 64, v21                                 // 000000003FF8: 682A2AC0
	s_nop 0                                                    // 000000003FFC: BF800000
	v_cndmask_b32_e64 v33, v25, v33, s[38:39]                  // 000000004000: D1000021 009A4319
	v_cmp_le_u32_e64 s[38:39], v22, v24                        // 000000004008: D0CB0026 00023116
	v_add_u32_e32 v22, 64, v22                                 // 000000004010: 682C2CC0
	s_nop 0                                                    // 000000004014: BF800000
	v_cndmask_b32_e64 v34, v25, v34, s[38:39]                  // 000000004018: D1000022 009A4519
	v_cmp_le_u32_e64 s[38:39], v23, v24                        // 000000004020: D0CB0026 00023117
	v_add_u32_e32 v23, 64, v23                                 // 000000004028: 682E2EC0
	s_nop 0                                                    // 00000000402C: BF800000
	v_cndmask_b32_e64 v35, v25, v35, s[38:39]                  // 000000004030: D1000023 009A4719

0000000000004038 <label_078E>:
	s_waitcnt lgkmcnt(0)                                       // 000000004038: BF8CC07F
	s_barrier                                                  // 00000000403C: BF8A0000
	v_max3_f32 v24, v32, v33, v32                              // 000000004040: D1D30018 04824320
	v_max3_f32 v24, v34, v35, v24                              // 000000004048: D1D30018 04624722
	ds_write_b32 v3, v24 offset:53504                          // 000000004050: D81AD100 00001803
	buffer_load_dword v19, s[20:23], 0 offen offset:512 lds    // 000000004058: E0511200 80050013
	s_add_u32 m0, 0x280, s36                                   // 000000004060: 807C24FF 00000280
	buffer_load_dword v18, s[20:23], 0 offen offset:640 lds    // 000000004068: E0511280 80050012
	s_add_u32 m0, 0x280, s37                                   // 000000004070: 807C25FF 00000280
	s_waitcnt lgkmcnt(0)                                       // 000000004078: BF8CC07F
	ds_read_b32 v20, v2 offset:53504                           // 00000000407C: D86CD100 14000002
	ds_read_b32 v21, v2 offset:53568                           // 000000004084: D86CD140 15000002
	ds_read_b32 v22, v2 offset:53632                           // 00000000408C: D86CD180 16000002
	ds_read_b32 v23, v2 offset:53696                           // 000000004094: D86CD1C0 17000002
	buffer_load_dword v19, s[20:23], 0 offen offset:640 lds    // 00000000409C: E0511280 80050013
	s_add_u32 m0, 0x300, s36                                   // 0000000040A4: 807C24FF 00000300
	buffer_load_dword v18, s[20:23], 0 offen offset:768 lds    // 0000000040AC: E0511300 80050012
	s_add_u32 m0, 0x300, s37                                   // 0000000040B4: 807C25FF 00000300
	buffer_load_dword v19, s[20:23], 0 offen offset:768 lds    // 0000000040BC: E0511300 80050013
	s_add_u32 m0, 0x380, s36                                   // 0000000040C4: 807C24FF 00000380
	s_waitcnt lgkmcnt(0)                                       // 0000000040CC: BF8CC07F
	v_max3_f32 v24, v20, v21, v24                              // 0000000040D0: D1D30018 04622B14
	v_max3_f32 v24, v22, v23, v24                              // 0000000040D8: D1D30018 04622F16
	buffer_load_dword v18, s[20:23], 0 offen offset:896 lds    // 0000000040E0: E0511380 80050012
	s_add_u32 m0, 0x380, s37                                   // 0000000040E8: 807C25FF 00000380
	buffer_load_dword v19, s[20:23], 0 offen offset:896 lds    // 0000000040F0: E0511380 80050013
	s_add_u32 m0, 0x400, s36                                   // 0000000040F8: 807C24FF 00000400
	ds_read_b128 a[144:147], v7 offset:37120                   // 000000004100: DBFE9100 90000007
	ds_read_b128 a[148:151], v7 offset:38144                   // 000000004108: DBFE9500 94000007
	buffer_load_dword v18, s[20:23], 0 offen offset:1024 lds   // 000000004110: E0511400 80050012
	s_add_u32 m0, 0x400, s37                                   // 000000004118: 807C25FF 00000400
	ds_read_b128 a[152:155], v7 offset:39168                   // 000000004120: DBFE9900 98000007
	ds_read_b128 a[156:159], v7 offset:40192                   // 000000004128: DBFE9D00 9C000007
	buffer_load_dword v19, s[20:23], 0 offen offset:1024 lds   // 000000004130: E0511400 80050013
	s_add_u32 m0, 0x480, s36                                   // 000000004138: 807C24FF 00000480
	ds_read_b128 a[160:163], v7 offset:41216                   // 000000004140: DBFEA100 A0000007
	ds_read_b128 a[164:167], v7 offset:42240                   // 000000004148: DBFEA500 A4000007
	ds_read_b128 a[168:171], v7 offset:43264                   // 000000004150: DBFEA900 A8000007
	ds_read_b128 a[172:175], v7 offset:44288                   // 000000004158: DBFEAD00 AC000007
	v_mov_b32_e32 v25, 0xff7fffff                              // 000000004160: 7E3202FF FF7FFFFF
	v_cmp_eq_u32_e64 s[38:39], v25, v12                        // 000000004168: D0CA0026 00021919
	v_max_f32_e32 v20, v24, v12                                // 000000004170: 16281918
	v_sub_f32_e32 v16, v12, v20                                // 000000004174: 0420290C
	v_cndmask_b32_e64 v16, v16, 0, s[38:39]                    // 000000004178: D1000010 00990110
	v_mov_b32_e32 v12, v20                                     // 000000004180: 7E180314
	v_mul_f32_e32 v21, s5, v20                                 // 000000004184: 0A2A2805
	v_mul_f32_e32 v16, s5, v16                                 // 000000004188: 0A202005
	v_exp_f32_e32 v16, v16                                     // 00000000418C: 7E204110
	v_fma_f32 v32, v32, s5, -v21                               // 000000004190: D1CB0020 84540B20
	v_fma_f32 v33, v33, s5, -v21                               // 000000004198: D1CB0021 84540B21
	v_fma_f32 v34, v34, s5, -v21                               // 0000000041A0: D1CB0022 84540B22
	v_fma_f32 v35, v35, s5, -v21                               // 0000000041A8: D1CB0023 84540B23
	v_exp_f32_e32 v32, v32                                     // 0000000041B0: 7E404120
	v_exp_f32_e32 v33, v33                                     // 0000000041B4: 7E424121
	v_exp_f32_e32 v34, v34                                     // 0000000041B8: 7E444122
	v_exp_f32_e32 v35, v35                                     // 0000000041BC: 7E464123
	v_mul_f32_e32 v14, v16, v14                                // 0000000041C0: 0A1C1D10
	v_mov_b32_e32 v22, v32                                     // 0000000041C4: 7E2C0320
	v_add_f32_e32 v22, v33, v22                                // 0000000041C8: 022C2D21
	v_add_f32_e32 v22, v34, v22                                // 0000000041CC: 022C2D22
	v_add_f32_e32 v22, v35, v22                                // 0000000041D0: 022C2D23
	v_add_f32_e32 v14, v22, v14                                // 0000000041D4: 021C1D16
	v_mov_b32_e32 v29, 0xffff0000                              // 0000000041D8: 7E3A02FF FFFF0000
	v_mov_b32_e32 v30, 0x7fff0000                              // 0000000041E0: 7E3C02FF 7FFF0000
	v_mov_b32_e32 v31, 0x7fff                                  // 0000000041E8: 7E3E02FF 00007FFF
	v_cmp_u_f32_e64 s[38:39], v32, v32                         // 0000000041F0: D0480026 00024120
	v_add3_u32 v28, v32, v31, 1                                // 0000000041F8: D1FF001C 02063F20
	v_cndmask_b32_e64 v20, v28, v30, s[38:39]                  // 000000004200: D1000014 009A3D1C
	v_cmp_u_f32_e64 s[38:39], v33, v33                         // 000000004208: D0480026 00024321
	v_add3_u32 v28, v33, v31, 1                                // 000000004210: D1FF001C 02063F21
	v_cndmask_b32_e64 v21, v28, v30, s[38:39]                  // 000000004218: D1000015 009A3D1C
	v_perm_b32 v32, v21, v20, s52                              // 000000004220: D1ED0020 00D22915
	v_cmp_u_f32_e64 s[38:39], v34, v34                         // 000000004228: D0480026 00024522
	v_add3_u32 v28, v34, v31, 1                                // 000000004230: D1FF001C 02063F22
	v_cndmask_b32_e64 v20, v28, v30, s[38:39]                  // 000000004238: D1000014 009A3D1C
	v_cmp_u_f32_e64 s[38:39], v35, v35                         // 000000004240: D0480026 00024723
	v_add3_u32 v28, v35, v31, 1                                // 000000004248: D1FF001C 02063F23
	v_cndmask_b32_e64 v21, v28, v30, s[38:39]                  // 000000004250: D1000015 009A3D1C
	v_perm_b32 v33, v21, v20, s52                              // 000000004258: D1ED0021 00D22915
	s_nop 2                                                    // 000000004260: BF800002
	s_add_u32 s83, s84, s83                                    // 000000004264: 80535354
	s_nop 0                                                    // 000000004268: BF800000
	v_mul_u32_u24_dpp v18, v10, v9 row_newbcast:0 row_mask:0xf bank_mask:0xf// 00000000426C: 102412FA FF01500A
	v_mul_u32_u24_dpp v19, v10, v9 row_newbcast:8 row_mask:0xf bank_mask:0xf// 000000004274: 102612FA FF01580A
	v_add_u32_e32 v18, v18, v1                                 // 00000000427C: 68240312
	v_add_u32_e32 v19, v19, v1                                 // 000000004280: 68260313
	s_mov_b32 m0, s34                                          // 000000004284: BEFC0022
	v_mov_b32_e32 v22, v16                                     // 000000004288: 7E2C0310
	v_mov_b32_e32 v23, v16                                     // 00000000428C: 7E2E0310
	v_pk_mul_f32 v[40:41], v[22:23], v[40:41]                  // 000000004290: D3B14028 18025116
	v_pk_mul_f32 v[42:43], v[22:23], v[42:43]                  // 000000004298: D3B1402A 18025516
	v_pk_mul_f32 v[44:45], v[22:23], v[44:45]                  // 0000000042A0: D3B1402C 18025916
	v_pk_mul_f32 v[46:47], v[22:23], v[46:47]                  // 0000000042A8: D3B1402E 18025D16
	v_pk_mul_f32 v[48:49], v[22:23], v[48:49]                  // 0000000042B0: D3B14030 18026116
	v_pk_mul_f32 v[50:51], v[22:23], v[50:51]                  // 0000000042B8: D3B14032 18026516
	v_pk_mul_f32 v[52:53], v[22:23], v[52:53]                  // 0000000042C0: D3B14034 18026916
	v_pk_mul_f32 v[54:55], v[22:23], v[54:55]                  // 0000000042C8: D3B14036 18026D16
	v_pk_mul_f32 v[56:57], v[22:23], v[56:57]                  // 0000000042D0: D3B14038 18027116
	v_pk_mul_f32 v[58:59], v[22:23], v[58:59]                  // 0000000042D8: D3B1403A 18027516
	v_pk_mul_f32 v[60:61], v[22:23], v[60:61]                  // 0000000042E0: D3B1403C 18027916
	v_pk_mul_f32 v[62:63], v[22:23], v[62:63]                  // 0000000042E8: D3B1403E 18027D16
	v_pk_mul_f32 v[64:65], v[22:23], v[64:65]                  // 0000000042F0: D3B14040 18028116
	v_pk_mul_f32 v[66:67], v[22:23], v[66:67]                  // 0000000042F8: D3B14042 18028516
	v_pk_mul_f32 v[68:69], v[22:23], v[68:69]                  // 000000004300: D3B14044 18028916
	v_pk_mul_f32 v[70:71], v[22:23], v[70:71]                  // 000000004308: D3B14046 18028D16
	v_pk_mul_f32 v[72:73], v[22:23], v[72:73]                  // 000000004310: D3B14048 18029116
	v_pk_mul_f32 v[74:75], v[22:23], v[74:75]                  // 000000004318: D3B1404A 18029516
	v_pk_mul_f32 v[76:77], v[22:23], v[76:77]                  // 000000004320: D3B1404C 18029916
	v_pk_mul_f32 v[78:79], v[22:23], v[78:79]                  // 000000004328: D3B1404E 18029D16
	v_pk_mul_f32 v[80:81], v[22:23], v[80:81]                  // 000000004330: D3B14050 1802A116
	v_pk_mul_f32 v[82:83], v[22:23], v[82:83]                  // 000000004338: D3B14052 1802A516
	v_pk_mul_f32 v[84:85], v[22:23], v[84:85]                  // 000000004340: D3B14054 1802A916
	v_pk_mul_f32 v[86:87], v[22:23], v[86:87]                  // 000000004348: D3B14056 1802AD16
	v_pk_mul_f32 v[88:89], v[22:23], v[88:89]                  // 000000004350: D3B14058 1802B116
	v_pk_mul_f32 v[90:91], v[22:23], v[90:91]                  // 000000004358: D3B1405A 1802B516
	v_pk_mul_f32 v[92:93], v[22:23], v[92:93]                  // 000000004360: D3B1405C 1802B916
	v_pk_mul_f32 v[94:95], v[22:23], v[94:95]                  // 000000004368: D3B1405E 1802BD16
	v_pk_mul_f32 v[96:97], v[22:23], v[96:97]                  // 000000004370: D3B14060 1802C116
	v_pk_mul_f32 v[98:99], v[22:23], v[98:99]                  // 000000004378: D3B14062 1802C516
	v_pk_mul_f32 v[100:101], v[22:23], v[100:101]              // 000000004380: D3B14064 1802C916
	v_pk_mul_f32 v[102:103], v[22:23], v[102:103]              // 000000004388: D3B14066 1802CD16
	v_pk_mul_f32 v[104:105], v[22:23], v[104:105]              // 000000004390: D3B14068 1802D116
	v_pk_mul_f32 v[106:107], v[22:23], v[106:107]              // 000000004398: D3B1406A 1802D516
	v_pk_mul_f32 v[108:109], v[22:23], v[108:109]              // 0000000043A0: D3B1406C 1802D916
	v_pk_mul_f32 v[110:111], v[22:23], v[110:111]              // 0000000043A8: D3B1406E 1802DD16
	v_pk_mul_f32 v[112:113], v[22:23], v[112:113]              // 0000000043B0: D3B14070 1802E116
	v_pk_mul_f32 v[114:115], v[22:23], v[114:115]              // 0000000043B8: D3B14072 1802E516
	v_pk_mul_f32 v[116:117], v[22:23], v[116:117]              // 0000000043C0: D3B14074 1802E916
	v_pk_mul_f32 v[118:119], v[22:23], v[118:119]              // 0000000043C8: D3B14076 1802ED16
	v_pk_mul_f32 v[120:121], v[22:23], v[120:121]              // 0000000043D0: D3B14078 1802F116
	v_pk_mul_f32 v[122:123], v[22:23], v[122:123]              // 0000000043D8: D3B1407A 1802F516
	v_pk_mul_f32 v[124:125], v[22:23], v[124:125]              // 0000000043E0: D3B1407C 1802F916
	v_pk_mul_f32 v[126:127], v[22:23], v[126:127]              // 0000000043E8: D3B1407E 1802FD16
	v_pk_mul_f32 v[128:129], v[22:23], v[128:129]              // 0000000043F0: D3B14080 18030116
	v_pk_mul_f32 v[130:131], v[22:23], v[130:131]              // 0000000043F8: D3B14082 18030516
	v_pk_mul_f32 v[132:133], v[22:23], v[132:133]              // 000000004400: D3B14084 18030916
	v_pk_mul_f32 v[134:135], v[22:23], v[134:135]              // 000000004408: D3B14086 18030D16
	v_pk_mul_f32 v[136:137], v[22:23], v[136:137]              // 000000004410: D3B14088 18031116
	v_pk_mul_f32 v[138:139], v[22:23], v[138:139]              // 000000004418: D3B1408A 18031516
	v_pk_mul_f32 v[140:141], v[22:23], v[140:141]              // 000000004420: D3B1408C 18031916
	v_pk_mul_f32 v[142:143], v[22:23], v[142:143]              // 000000004428: D3B1408E 18031D16
	v_pk_mul_f32 v[144:145], v[22:23], v[144:145]              // 000000004430: D3B14090 18032116
	v_pk_mul_f32 v[146:147], v[22:23], v[146:147]              // 000000004438: D3B14092 18032516
	v_pk_mul_f32 v[148:149], v[22:23], v[148:149]              // 000000004440: D3B14094 18032916
	v_pk_mul_f32 v[150:151], v[22:23], v[150:151]              // 000000004448: D3B14096 18032D16
	v_pk_mul_f32 v[152:153], v[22:23], v[152:153]              // 000000004450: D3B14098 18033116
	v_pk_mul_f32 v[154:155], v[22:23], v[154:155]              // 000000004458: D3B1409A 18033516
	v_pk_mul_f32 v[156:157], v[22:23], v[156:157]              // 000000004460: D3B1409C 18033916
	v_pk_mul_f32 v[158:159], v[22:23], v[158:159]              // 000000004468: D3B1409E 18033D16
	v_pk_mul_f32 v[160:161], v[22:23], v[160:161]              // 000000004470: D3B140A0 18034116
	v_pk_mul_f32 v[162:163], v[22:23], v[162:163]              // 000000004478: D3B140A2 18034516
	v_pk_mul_f32 v[164:165], v[22:23], v[164:165]              // 000000004480: D3B140A4 18034916
	v_pk_mul_f32 v[166:167], v[22:23], v[166:167]              // 000000004488: D3B140A6 18034D16
	s_waitcnt lgkmcnt(0)                                       // 000000004490: BF8CC07F
	v_mfma_f32_16x16x16_bf16 v[40:43], a[144:145], v[32:33], v[40:43]// 000000004494: D3E10028 0CA24190
	ds_read_b128 a[176:179], v7 offset:45312                   // 00000000449C: DBFEB100 B0000007
	ds_read_b128 a[180:183], v7 offset:46336                   // 0000000044A4: DBFEB500 B4000007
	v_mfma_f32_16x16x16_bf16 v[44:47], a[146:147], v[32:33], v[44:47]// 0000000044AC: D3E1002C 0CB24192
	v_mfma_f32_16x16x16_bf16 v[48:51], a[148:149], v[32:33], v[48:51]// 0000000044B4: D3E10030 0CC24194
	v_mfma_f32_16x16x16_bf16 v[52:55], a[150:151], v[32:33], v[52:55]// 0000000044BC: D3E10034 0CD24196
	v_mfma_f32_16x16x16_bf16 v[56:59], a[152:153], v[32:33], v[56:59]// 0000000044C4: D3E10038 0CE24198
	ds_read_b128 a[184:187], v7 offset:47360                   // 0000000044CC: DBFEB900 B8000007
	ds_read_b128 a[188:191], v7 offset:48384                   // 0000000044D4: DBFEBD00 BC000007
	v_mfma_f32_16x16x16_bf16 v[60:63], a[154:155], v[32:33], v[60:63]// 0000000044DC: D3E1003C 0CF2419A
	v_mfma_f32_16x16x16_bf16 v[64:67], a[156:157], v[32:33], v[64:67]// 0000000044E4: D3E10040 0D02419C
	v_mfma_f32_16x16x16_bf16 v[68:71], a[158:159], v[32:33], v[68:71]// 0000000044EC: D3E10044 0D12419E
	v_mfma_f32_16x16x16_bf16 v[72:75], a[160:161], v[32:33], v[72:75]// 0000000044F4: D3E10048 0D2241A0
	ds_read_b128 a[192:195], v7 offset:49408                   // 0000000044FC: DBFEC100 C0000007
	ds_read_b128 a[196:199], v7 offset:50432                   // 000000004504: DBFEC500 C4000007
	v_mfma_f32_16x16x16_bf16 v[76:79], a[162:163], v[32:33], v[76:79]// 00000000450C: D3E1004C 0D3241A2
	v_mfma_f32_16x16x16_bf16 v[80:83], a[164:165], v[32:33], v[80:83]// 000000004514: D3E10050 0D4241A4
	v_mfma_f32_16x16x16_bf16 v[84:87], a[166:167], v[32:33], v[84:87]// 00000000451C: D3E10054 0D5241A6
	v_mfma_f32_16x16x16_bf16 v[88:91], a[168:169], v[32:33], v[88:91]// 000000004524: D3E10058 0D6241A8
	ds_read_b128 a[200:203], v7 offset:51456                   // 00000000452C: DBFEC900 C8000007
	ds_read_b128 a[204:207], v7 offset:52480                   // 000000004534: DBFECD00 CC000007
	v_mfma_f32_16x16x16_bf16 v[92:95], a[170:171], v[32:33], v[92:95]// 00000000453C: D3E1005C 0D7241AA
	v_mfma_f32_16x16x16_bf16 v[96:99], a[172:173], v[32:33], v[96:99]// 000000004544: D3E10060 0D8241AC
	v_mfma_f32_16x16x16_bf16 v[100:103], a[174:175], v[32:33], v[100:103]// 00000000454C: D3E10064 0D9241AE
	s_waitcnt lgkmcnt(4)                                       // 000000004554: BF8CC47F
	v_mfma_f32_16x16x16_bf16 v[104:107], a[176:177], v[32:33], v[104:107]// 000000004558: D3E10068 0DA241B0
	v_mfma_f32_16x16x16_bf16 v[108:111], a[178:179], v[32:33], v[108:111]// 000000004560: D3E1006C 0DB241B2
	v_mfma_f32_16x16x16_bf16 v[112:115], a[180:181], v[32:33], v[112:115]// 000000004568: D3E10070 0DC241B4
	s_waitcnt vmcnt(18) lgkmcnt(0)                             // 000000004570: BF8C4072
	s_barrier                                                  // 000000004574: BF8A0000
	v_mfma_f32_16x16x16_bf16 v[116:119], a[182:183], v[32:33], v[116:119]// 000000004578: D3E10074 0DD241B6
	ds_read_b64 v[20:21], v5                                   // 000000004580: D8EC0000 14000005
	ds_read_b64 v[22:23], v5 offset:4640                       // 000000004588: D8EC1220 16000005
	v_mfma_f32_16x16x16_bf16 v[120:123], a[184:185], v[32:33], v[120:123]// 000000004590: D3E10078 0DE241B8
	ds_read_b64 v[24:25], v5 offset:9280                       // 000000004598: D8EC2440 18000005
	ds_read_b64 v[26:27], v5 offset:13920                      // 0000000045A0: D8EC3660 1A000005
	v_mfma_f32_16x16x16_bf16 v[124:127], a[186:187], v[32:33], v[124:127]// 0000000045A8: D3E1007C 0DF241BA
	ds_read_b128 a[144:147], v4                                // 0000000045B0: DBFE0000 90000004
	v_mfma_f32_16x16x16_bf16 v[128:131], a[188:189], v[32:33], v[128:131]// 0000000045B8: D3E10080 0E0241BC
	ds_read_b128 a[148:151], v4 offset:64                      // 0000000045C0: DBFE0040 94000004
	v_mfma_f32_16x16x16_bf16 v[132:135], a[190:191], v[32:33], v[132:135]// 0000000045C8: D3E10084 0E1241BE
	ds_read_b128 a[152:155], v4 offset:256                     // 0000000045D0: DBFE0100 98000004
	v_mfma_f32_16x16x16_bf16 v[136:139], a[192:193], v[32:33], v[136:139]// 0000000045D8: D3E10088 0E2241C0
	ds_read_b128 a[156:159], v4 offset:320                     // 0000000045E0: DBFE0140 9C000004
	v_mfma_f32_16x16x16_bf16 v[140:143], a[194:195], v[32:33], v[140:143]// 0000000045E8: D3E1008C 0E3241C2
	ds_read_b128 a[160:163], v4 offset:512                     // 0000000045F0: DBFE0200 A0000004
	v_mfma_f32_16x16x16_bf16 v[144:147], a[196:197], v[32:33], v[144:147]// 0000000045F8: D3E10090 0E4241C4
	ds_read_b128 a[164:167], v4 offset:576                     // 000000004600: DBFE0240 A4000004
	v_mfma_f32_16x16x16_bf16 v[148:151], a[198:199], v[32:33], v[148:151]// 000000004608: D3E10094 0E5241C6
	ds_read_b128 a[168:171], v4 offset:768                     // 000000004610: DBFE0300 A8000004
	v_mfma_f32_16x16x16_bf16 v[152:155], a[200:201], v[32:33], v[152:155]// 000000004618: D3E10098 0E6241C8
	ds_read_b128 a[172:175], v4 offset:832                     // 000000004620: DBFE0340 AC000004
	v_mfma_f32_16x16x16_bf16 v[156:159], a[202:203], v[32:33], v[156:159]// 000000004628: D3E1009C 0E7241CA
	s_waitcnt lgkmcnt(8)                                       // 000000004630: BF8CC87F
	v_perm_b32 v168, v22, v20, s53                             // 000000004634: D1ED00A8 00D62916
	v_perm_b32 v170, v22, v20, s52                             // 00000000463C: D1ED00AA 00D22916
	v_perm_b32 v169, v26, v24, s53                             // 000000004644: D1ED00A9 00D6311A
	v_perm_b32 v171, v26, v24, s52                             // 00000000464C: D1ED00AB 00D2311A
	v_mfma_f32_16x16x16_bf16 v[160:163], a[204:205], v[32:33], v[160:163]// 000000004654: D3E100A0 0E8241CC
	ds_write_b128 v6, v[168:171] offset:37120                  // 00000000465C: D9BE9100 0000A806
	v_perm_b32 v168, v23, v21, s53                             // 000000004664: D1ED00A8 00D62B17
	v_perm_b32 v170, v23, v21, s52                             // 00000000466C: D1ED00AA 00D22B17
	v_perm_b32 v169, v27, v25, s53                             // 000000004674: D1ED00A9 00D6331B
	v_perm_b32 v171, v27, v25, s52                             // 00000000467C: D1ED00AB 00D2331B
	v_mfma_f32_16x16x16_bf16 v[164:167], a[206:207], v[32:33], v[164:167]// 000000004684: D3E100A4 0E9241CE
	ds_write_b128 v6, v[168:171] offset:38144                  // 00000000468C: D9BE9500 0000A806
	ds_read_b64 v[20:21], v5 offset:1024                       // 000000004694: D8EC0400 14000005
	ds_read_b64 v[22:23], v5 offset:5664                       // 00000000469C: D8EC1620 16000005
	ds_read_b64 v[24:25], v5 offset:10304                      // 0000000046A4: D8EC2840 18000005
	ds_read_b64 v[26:27], v5 offset:14944                      // 0000000046AC: D8EC3A60 1A000005
	s_nop 0                                                    // 0000000046B4: BF800000
	s_addk_i32 s70, 0x1                                        // 0000000046B8: B7460001
	s_cmp_lt_i32 s70, s71                                      // 0000000046BC: BF044746
	s_cbranch_scc0 label_0932                                  // 0000000046C0: BF840001
	s_branch label_0469                                        // 0000000046C4: BF82FB37

00000000000046c8 <label_0932>:
	s_nop 0                                                    // 0000000046C8: BF800000
	s_nop 0                                                    // 0000000046CC: BF800000
	s_branch label_0DFE                                        // 0000000046D0: BF8204C9

00000000000046d4 <label_0935>:
	s_waitcnt lgkmcnt(4)                                       // 0000000046D4: BF8CC47F
	v_mfma_f32_16x16x16_bf16 v[32:35], a[144:145], a[0:1], 0   // 0000000046D8: D3E10020 1A020190
	buffer_load_dword v10, v8, s[24:27], 0 offen               // 0000000046E0: E0501000 80060A08
	v_mfma_f32_16x16x16_bf16 v[32:35], a[146:147], a[2:3], v[32:35]// 0000000046E8: D3E10020 1C820592
	ds_read_b128 a[176:179], v4 offset:1024                    // 0000000046F0: DBFE0400 B0000004
	ds_read_b128 a[180:183], v4 offset:1088                    // 0000000046F8: DBFE0440 B4000004
	v_mfma_f32_16x16x16_bf16 v[32:35], a[148:149], a[4:5], v[32:35]// 000000004700: D3E10020 1C820994
	v_mfma_f32_16x16x16_bf16 v[32:35], a[150:151], a[6:7], v[32:35]// 000000004708: D3E10020 1C820D96
	v_mfma_f32_16x16x16_bf16 v[32:35], a[152:153], a[8:9], v[32:35]// 000000004710: D3E10020 1C821198
	v_mfma_f32_16x16x16_bf16 v[32:35], a[154:155], a[10:11], v[32:35]// 000000004718: D3E10020 1C82159A
	ds_read_b128 a[184:187], v4 offset:1280                    // 000000004720: DBFE0500 B8000004
	ds_read_b128 a[188:191], v4 offset:1344                    // 000000004728: DBFE0540 BC000004
	v_mfma_f32_16x16x16_bf16 v[32:35], a[156:157], a[12:13], v[32:35]// 000000004730: D3E10020 1C82199C
	v_mfma_f32_16x16x16_bf16 v[32:35], a[158:159], a[14:15], v[32:35]// 000000004738: D3E10020 1C821D9E
	s_waitcnt lgkmcnt(4)                                       // 000000004740: BF8CC47F
	v_mfma_f32_16x16x16_bf16 v[32:35], a[160:161], a[16:17], v[32:35]// 000000004744: D3E10020 1C8221A0
	v_mfma_f32_16x16x16_bf16 v[32:35], a[162:163], a[18:19], v[32:35]// 00000000474C: D3E10020 1C8225A2
	ds_read_b128 a[192:195], v4 offset:1536                    // 000000004754: DBFE0600 C0000004
	ds_read_b128 a[196:199], v4 offset:1600                    // 00000000475C: DBFE0640 C4000004
	v_mfma_f32_16x16x16_bf16 v[32:35], a[164:165], a[20:21], v[32:35]// 000000004764: D3E10020 1C8229A4
	v_mfma_f32_16x16x16_bf16 v[32:35], a[166:167], a[22:23], v[32:35]// 00000000476C: D3E10020 1C822DA6
	v_mfma_f32_16x16x16_bf16 v[32:35], a[168:169], a[24:25], v[32:35]// 000000004774: D3E10020 1C8231A8
	v_mfma_f32_16x16x16_bf16 v[32:35], a[170:171], a[26:27], v[32:35]// 00000000477C: D3E10020 1C8235AA
	ds_read_b128 a[200:203], v4 offset:1792                    // 000000004784: DBFE0700 C8000004
	ds_read_b128 a[204:207], v4 offset:1856                    // 00000000478C: DBFE0740 CC000004
	v_mfma_f32_16x16x16_bf16 v[32:35], a[172:173], a[28:29], v[32:35]// 000000004794: D3E10020 1C8239AC
	v_mfma_f32_16x16x16_bf16 v[32:35], a[174:175], a[30:31], v[32:35]// 00000000479C: D3E10020 1C823DAE
	s_waitcnt lgkmcnt(4)                                       // 0000000047A4: BF8CC47F
	s_barrier                                                  // 0000000047A8: BF8A0000
	v_mfma_f32_16x16x16_bf16 v[32:35], a[176:177], a[32:33], v[32:35]// 0000000047AC: D3E10020 1C8241B0
	v_mfma_f32_16x16x16_bf16 v[32:35], a[178:179], a[34:35], v[32:35]// 0000000047B4: D3E10020 1C8245B2
	ds_read_b128 a[208:211], v4 offset:2048                    // 0000000047BC: DBFE0800 D0000004
	ds_read_b128 a[212:215], v4 offset:2112                    // 0000000047C4: DBFE0840 D4000004
	v_mfma_f32_16x16x16_bf16 v[32:35], a[180:181], a[36:37], v[32:35]// 0000000047CC: D3E10020 1C8249B4
	buffer_load_dword v18, s[20:23], 0 offen lds               // 0000000047D4: E0511000 80050012
	s_add_u32 m0, 0, s35                                       // 0000000047DC: 807C2380
	v_mfma_f32_16x16x16_bf16 v[32:35], a[182:183], a[38:39], v[32:35]// 0000000047E0: D3E10020 1C824DB6
	v_perm_b32 v168, v22, v20, s53                             // 0000000047E8: D1ED00A8 00D62916
	v_perm_b32 v170, v22, v20, s52                             // 0000000047F0: D1ED00AA 00D22916
	v_perm_b32 v169, v26, v24, s53                             // 0000000047F8: D1ED00A9 00D6311A
	v_perm_b32 v171, v26, v24, s52                             // 000000004800: D1ED00AB 00D2311A
	v_mfma_f32_16x16x16_bf16 v[32:35], a[184:185], a[40:41], v[32:35]// 000000004808: D3E10020 1C8251B8
	buffer_load_dword v19, s[20:23], 0 offen lds               // 000000004810: E0511000 80050013
	s_add_u32 m0, 0x80, s34                                    // 000000004818: 807C22FF 00000080
	v_mfma_f32_16x16x16_bf16 v[32:35], a[186:187], a[42:43], v[32:35]// 000000004820: D3E10020 1C8255BA
	ds_write_b128 v6, v[168:171] offset:45312                  // 000000004828: D9BEB100 0000A806
	v_mfma_f32_16x16x16_bf16 v[32:35], a[188:189], a[44:45], v[32:35]// 000000004830: D3E10020 1C8259BC
	buffer_load_dword v18, s[20:23], 0 offen offset:128 lds    // 000000004838: E0511080 80050012
	s_add_u32 m0, 0x80, s35                                    // 000000004840: 807C23FF 00000080
	v_mfma_f32_16x16x16_bf16 v[32:35], a[190:191], a[46:47], v[32:35]// 000000004848: D3E10020 1C825DBE
	v_perm_b32 v168, v23, v21, s53                             // 000000004850: D1ED00A8 00D62B17
	v_perm_b32 v170, v23, v21, s52                             // 000000004858: D1ED00AA 00D22B17
	v_perm_b32 v169, v27, v25, s53                             // 000000004860: D1ED00A9 00D6331B
	v_perm_b32 v171, v27, v25, s52                             // 000000004868: D1ED00AB 00D2331B
	s_waitcnt lgkmcnt(1)                                       // 000000004870: BF8CC17F
	v_mfma_f32_16x16x16_bf16 v[32:35], a[192:193], a[48:49], v[32:35]// 000000004874: D3E10020 1C8261C0
	buffer_load_dword v19, s[20:23], 0 offen offset:128 lds    // 00000000487C: E0511080 80050013
	s_add_u32 m0, 0x100, s34                                   // 000000004884: 807C22FF 00000100
	v_mfma_f32_16x16x16_bf16 v[32:35], a[194:195], a[50:51], v[32:35]// 00000000488C: D3E10020 1C8265C2
	ds_write_b128 v6, v[168:171] offset:46336                  // 000000004894: D9BEB500 0000A806
	v_mfma_f32_16x16x16_bf16 v[32:35], a[196:197], a[52:53], v[32:35]// 00000000489C: D3E10020 1C8269C4
	buffer_load_dword v18, s[20:23], 0 offen offset:256 lds    // 0000000048A4: E0511100 80050012
	s_add_u32 m0, 0x100, s35                                   // 0000000048AC: 807C23FF 00000100
	v_mfma_f32_16x16x16_bf16 v[32:35], a[198:199], a[54:55], v[32:35]// 0000000048B4: D3E10020 1C826DC6
	v_mfma_f32_16x16x16_bf16 v[32:35], a[200:201], a[56:57], v[32:35]// 0000000048BC: D3E10020 1C8271C8
	buffer_load_dword v19, s[20:23], 0 offen offset:256 lds    // 0000000048C4: E0511100 80050013
	s_add_u32 m0, 0x180, s34                                   // 0000000048CC: 807C22FF 00000180
	v_mfma_f32_16x16x16_bf16 v[32:35], a[202:203], a[58:59], v[32:35]// 0000000048D4: D3E10020 1C8275CA
	v_mfma_f32_16x16x16_bf16 v[32:35], a[204:205], a[60:61], v[32:35]// 0000000048DC: D3E10020 1C8279CC
	buffer_load_dword v18, s[20:23], 0 offen offset:384 lds    // 0000000048E4: E0511180 80050012
	s_add_u32 m0, 0x180, s35                                   // 0000000048EC: 807C23FF 00000180
	v_mfma_f32_16x16x16_bf16 v[32:35], a[206:207], a[62:63], v[32:35]// 0000000048F4: D3E10020 1C827DCE
	v_mfma_f32_16x16x16_bf16 v[32:35], a[208:209], a[64:65], v[32:35]// 0000000048FC: D3E10020 1C8281D0
	buffer_load_dword v19, s[20:23], 0 offen offset:384 lds    // 000000004904: E0511180 80050013
	s_add_u32 m0, 0x200, s34                                   // 00000000490C: 807C22FF 00000200
	v_mfma_f32_16x16x16_bf16 v[32:35], a[210:211], a[66:67], v[32:35]// 000000004914: D3E10020 1C8285D2
	v_mfma_f32_16x16x16_bf16 v[32:35], a[212:213], a[68:69], v[32:35]// 00000000491C: D3E10020 1C8289D4
	buffer_load_dword v18, s[20:23], 0 offen offset:512 lds    // 000000004924: E0511200 80050012
	s_add_u32 m0, 0x200, s35                                   // 00000000492C: 807C23FF 00000200
	v_mfma_f32_16x16x16_bf16 v[32:35], a[214:215], a[70:71], v[32:35]// 000000004934: D3E10020 1C828DD6
	v_add_u32_e32 v8, s73, v8                                  // 00000000493C: 68101049
	s_cmp_le_i32 s83, s82                                      // 000000004940: BF055253
	s_cbranch_scc1 label_09F6                                  // 000000004944: BF850024
	v_mov_b32_e32 v25, 0xff800000                              // 000000004948: 7E3202FF FF800000
	s_add_u32 s57, s82, 0                                      // 000000004950: 80398052
	v_mov_b32_e32 v24, s57                                     // 000000004954: 7E300239
	v_add_u32_e32 v24, s7, v24                                 // 000000004958: 68303007
	s_sub_u32 s56, s83, 15                                     // 00000000495C: 80B88F53
	v_lshrrev_b32_e32 v20, 4, v0                               // 000000004960: 20280084
	v_mul_i32_i24_e32 v20, 4, v20                              // 000000004964: 0C282884
	v_add_u32_e32 v20, s56, v20                                // 000000004968: 68282838
	v_add_u32_e32 v21, 1, v20                                  // 00000000496C: 682A2881
	v_add_u32_e32 v22, 2, v20                                  // 000000004970: 682C2882
	v_add_u32_e32 v23, 3, v20                                  // 000000004974: 682E2883
	v_cmp_le_u32_e64 s[38:39], v20, v24                        // 000000004978: D0CB0026 00023114
	v_add_u32_e32 v20, 64, v20                                 // 000000004980: 682828C0
	s_nop 0                                                    // 000000004984: BF800000
	v_cndmask_b32_e64 v32, v25, v32, s[38:39]                  // 000000004988: D1000020 009A4119
	v_cmp_le_u32_e64 s[38:39], v21, v24                        // 000000004990: D0CB0026 00023115
	v_add_u32_e32 v21, 64, v21                                 // 000000004998: 682A2AC0
	s_nop 0                                                    // 00000000499C: BF800000
	v_cndmask_b32_e64 v33, v25, v33, s[38:39]                  // 0000000049A0: D1000021 009A4319
	v_cmp_le_u32_e64 s[38:39], v22, v24                        // 0000000049A8: D0CB0026 00023116
	v_add_u32_e32 v22, 64, v22                                 // 0000000049B0: 682C2CC0
	s_nop 0                                                    // 0000000049B4: BF800000
	v_cndmask_b32_e64 v34, v25, v34, s[38:39]                  // 0000000049B8: D1000022 009A4519
	v_cmp_le_u32_e64 s[38:39], v23, v24                        // 0000000049C0: D0CB0026 00023117
	v_add_u32_e32 v23, 64, v23                                 // 0000000049C8: 682E2EC0
	s_nop 0                                                    // 0000000049CC: BF800000
	v_cndmask_b32_e64 v35, v25, v35, s[38:39]                  // 0000000049D0: D1000023 009A4719

00000000000049d8 <label_09F6>:
	s_waitcnt lgkmcnt(0)                                       // 0000000049D8: BF8CC07F
	s_barrier                                                  // 0000000049DC: BF8A0000
	v_max3_f32 v24, v32, v33, v32                              // 0000000049E0: D1D30018 04824320
	v_max3_f32 v24, v34, v35, v24                              // 0000000049E8: D1D30018 04624722
	ds_write_b32 v3, v24 offset:53504                          // 0000000049F0: D81AD100 00001803
	buffer_load_dword v19, s[20:23], 0 offen offset:512 lds    // 0000000049F8: E0511200 80050013
	s_add_u32 m0, 0x280, s34                                   // 000000004A00: 807C22FF 00000280
	buffer_load_dword v18, s[20:23], 0 offen offset:640 lds    // 000000004A08: E0511280 80050012
	s_add_u32 m0, 0x280, s35                                   // 000000004A10: 807C23FF 00000280
	s_waitcnt lgkmcnt(0)                                       // 000000004A18: BF8CC07F
	ds_read_b32 v20, v2 offset:53504                           // 000000004A1C: D86CD100 14000002
	ds_read_b32 v21, v2 offset:53568                           // 000000004A24: D86CD140 15000002
	ds_read_b32 v22, v2 offset:53632                           // 000000004A2C: D86CD180 16000002
	ds_read_b32 v23, v2 offset:53696                           // 000000004A34: D86CD1C0 17000002
	buffer_load_dword v19, s[20:23], 0 offen offset:640 lds    // 000000004A3C: E0511280 80050013
	s_add_u32 m0, 0x300, s34                                   // 000000004A44: 807C22FF 00000300
	buffer_load_dword v18, s[20:23], 0 offen offset:768 lds    // 000000004A4C: E0511300 80050012
	s_add_u32 m0, 0x300, s35                                   // 000000004A54: 807C23FF 00000300
	buffer_load_dword v19, s[20:23], 0 offen offset:768 lds    // 000000004A5C: E0511300 80050013
	s_add_u32 m0, 0x380, s34                                   // 000000004A64: 807C22FF 00000380
	s_waitcnt lgkmcnt(0)                                       // 000000004A6C: BF8CC07F
	v_max3_f32 v24, v20, v21, v24                              // 000000004A70: D1D30018 04622B14
	v_max3_f32 v24, v22, v23, v24                              // 000000004A78: D1D30018 04622F16
	buffer_load_dword v18, s[20:23], 0 offen offset:896 lds    // 000000004A80: E0511380 80050012
	s_add_u32 m0, 0x380, s35                                   // 000000004A88: 807C23FF 00000380
	buffer_load_dword v19, s[20:23], 0 offen offset:896 lds    // 000000004A90: E0511380 80050013
	s_add_u32 m0, 0x400, s34                                   // 000000004A98: 807C22FF 00000400
	buffer_load_dword v18, s[20:23], 0 offen offset:1024 lds   // 000000004AA0: E0511400 80050012
	s_add_u32 m0, 0x400, s35                                   // 000000004AA8: 807C23FF 00000400
	ds_read_b128 a[144:147], v7 offset:37120                   // 000000004AB0: DBFE9100 90000007
	ds_read_b128 a[148:151], v7 offset:38144                   // 000000004AB8: DBFE9500 94000007
	buffer_load_dword v19, s[20:23], 0 offen offset:1024 lds   // 000000004AC0: E0511400 80050013
	s_add_u32 m0, 0x480, s34                                   // 000000004AC8: 807C22FF 00000480
	ds_read_b128 a[152:155], v7 offset:39168                   // 000000004AD0: DBFE9900 98000007
	ds_read_b128 a[156:159], v7 offset:40192                   // 000000004AD8: DBFE9D00 9C000007
	ds_read_b128 a[160:163], v7 offset:41216                   // 000000004AE0: DBFEA100 A0000007
	ds_read_b128 a[164:167], v7 offset:42240                   // 000000004AE8: DBFEA500 A4000007
	ds_read_b128 a[168:171], v7 offset:43264                   // 000000004AF0: DBFEA900 A8000007
	ds_read_b128 a[172:175], v7 offset:44288                   // 000000004AF8: DBFEAD00 AC000007
	v_mov_b32_e32 v25, 0xff7fffff                              // 000000004B00: 7E3202FF FF7FFFFF
	v_cmp_eq_u32_e64 s[38:39], v25, v12                        // 000000004B08: D0CA0026 00021919
	v_max_f32_e32 v20, v24, v12                                // 000000004B10: 16281918
	v_sub_f32_e32 v16, v12, v20                                // 000000004B14: 0420290C
	v_cndmask_b32_e64 v16, v16, 0, s[38:39]                    // 000000004B18: D1000010 00990110
	v_mov_b32_e32 v12, v20                                     // 000000004B20: 7E180314
	v_mul_f32_e32 v21, s5, v20                                 // 000000004B24: 0A2A2805
	v_mul_f32_e32 v16, s5, v16                                 // 000000004B28: 0A202005
	v_exp_f32_e32 v16, v16                                     // 000000004B2C: 7E204110
	v_fma_f32 v32, v32, s5, -v21                               // 000000004B30: D1CB0020 84540B20
	v_fma_f32 v33, v33, s5, -v21                               // 000000004B38: D1CB0021 84540B21
	v_fma_f32 v34, v34, s5, -v21                               // 000000004B40: D1CB0022 84540B22
	v_fma_f32 v35, v35, s5, -v21                               // 000000004B48: D1CB0023 84540B23
	v_exp_f32_e32 v32, v32                                     // 000000004B50: 7E404120
	v_exp_f32_e32 v33, v33                                     // 000000004B54: 7E424121
	v_exp_f32_e32 v34, v34                                     // 000000004B58: 7E444122
	v_exp_f32_e32 v35, v35                                     // 000000004B5C: 7E464123
	v_mul_f32_e32 v14, v16, v14                                // 000000004B60: 0A1C1D10
	v_mov_b32_e32 v22, v32                                     // 000000004B64: 7E2C0320
	v_add_f32_e32 v22, v33, v22                                // 000000004B68: 022C2D21
	v_add_f32_e32 v22, v34, v22                                // 000000004B6C: 022C2D22
	v_add_f32_e32 v22, v35, v22                                // 000000004B70: 022C2D23
	v_add_f32_e32 v14, v22, v14                                // 000000004B74: 021C1D16
	v_mov_b32_e32 v29, 0xffff0000                              // 000000004B78: 7E3A02FF FFFF0000
	v_mov_b32_e32 v30, 0x7fff0000                              // 000000004B80: 7E3C02FF 7FFF0000
	v_mov_b32_e32 v31, 0x7fff                                  // 000000004B88: 7E3E02FF 00007FFF
	v_cmp_u_f32_e64 s[38:39], v32, v32                         // 000000004B90: D0480026 00024120
	v_add3_u32 v28, v32, v31, 1                                // 000000004B98: D1FF001C 02063F20
	v_cndmask_b32_e64 v20, v28, v30, s[38:39]                  // 000000004BA0: D1000014 009A3D1C
	v_cmp_u_f32_e64 s[38:39], v33, v33                         // 000000004BA8: D0480026 00024321
	v_add3_u32 v28, v33, v31, 1                                // 000000004BB0: D1FF001C 02063F21
	v_cndmask_b32_e64 v21, v28, v30, s[38:39]                  // 000000004BB8: D1000015 009A3D1C
	v_perm_b32 v32, v21, v20, s52                              // 000000004BC0: D1ED0020 00D22915
	v_cmp_u_f32_e64 s[38:39], v34, v34                         // 000000004BC8: D0480026 00024522
	v_add3_u32 v28, v34, v31, 1                                // 000000004BD0: D1FF001C 02063F22
	v_cndmask_b32_e64 v20, v28, v30, s[38:39]                  // 000000004BD8: D1000014 009A3D1C
	v_cmp_u_f32_e64 s[38:39], v35, v35                         // 000000004BE0: D0480026 00024723
	v_add3_u32 v28, v35, v31, 1                                // 000000004BE8: D1FF001C 02063F23
	v_cndmask_b32_e64 v21, v28, v30, s[38:39]                  // 000000004BF0: D1000015 009A3D1C
	v_perm_b32 v33, v21, v20, s52                              // 000000004BF8: D1ED0021 00D22915
	s_nop 2                                                    // 000000004C00: BF800002
	s_add_u32 s83, s84, s83                                    // 000000004C04: 80535354
	s_nop 0                                                    // 000000004C08: BF800000
	v_mul_u32_u24_dpp v18, v11, v9 row_newbcast:0 row_mask:0xf bank_mask:0xf// 000000004C0C: 102412FA FF01500B
	v_mul_u32_u24_dpp v19, v11, v9 row_newbcast:8 row_mask:0xf bank_mask:0xf// 000000004C14: 102612FA FF01580B
	v_add_u32_e32 v18, v18, v1                                 // 000000004C1C: 68240312
	v_add_u32_e32 v19, v19, v1                                 // 000000004C20: 68260313
	s_mov_b32 m0, s36                                          // 000000004C24: BEFC0024
	v_mov_b32_e32 v22, v16                                     // 000000004C28: 7E2C0310
	v_mov_b32_e32 v23, v16                                     // 000000004C2C: 7E2E0310
	v_pk_mul_f32 v[40:41], v[22:23], v[40:41]                  // 000000004C30: D3B14028 18025116
	v_pk_mul_f32 v[42:43], v[22:23], v[42:43]                  // 000000004C38: D3B1402A 18025516
	v_pk_mul_f32 v[44:45], v[22:23], v[44:45]                  // 000000004C40: D3B1402C 18025916
	v_pk_mul_f32 v[46:47], v[22:23], v[46:47]                  // 000000004C48: D3B1402E 18025D16
	v_pk_mul_f32 v[48:49], v[22:23], v[48:49]                  // 000000004C50: D3B14030 18026116
	v_pk_mul_f32 v[50:51], v[22:23], v[50:51]                  // 000000004C58: D3B14032 18026516
	v_pk_mul_f32 v[52:53], v[22:23], v[52:53]                  // 000000004C60: D3B14034 18026916
	v_pk_mul_f32 v[54:55], v[22:23], v[54:55]                  // 000000004C68: D3B14036 18026D16
	v_pk_mul_f32 v[56:57], v[22:23], v[56:57]                  // 000000004C70: D3B14038 18027116
	v_pk_mul_f32 v[58:59], v[22:23], v[58:59]                  // 000000004C78: D3B1403A 18027516
	v_pk_mul_f32 v[60:61], v[22:23], v[60:61]                  // 000000004C80: D3B1403C 18027916
	v_pk_mul_f32 v[62:63], v[22:23], v[62:63]                  // 000000004C88: D3B1403E 18027D16
	v_pk_mul_f32 v[64:65], v[22:23], v[64:65]                  // 000000004C90: D3B14040 18028116
	v_pk_mul_f32 v[66:67], v[22:23], v[66:67]                  // 000000004C98: D3B14042 18028516
	v_pk_mul_f32 v[68:69], v[22:23], v[68:69]                  // 000000004CA0: D3B14044 18028916
	v_pk_mul_f32 v[70:71], v[22:23], v[70:71]                  // 000000004CA8: D3B14046 18028D16
	v_pk_mul_f32 v[72:73], v[22:23], v[72:73]                  // 000000004CB0: D3B14048 18029116
	v_pk_mul_f32 v[74:75], v[22:23], v[74:75]                  // 000000004CB8: D3B1404A 18029516
	v_pk_mul_f32 v[76:77], v[22:23], v[76:77]                  // 000000004CC0: D3B1404C 18029916
	v_pk_mul_f32 v[78:79], v[22:23], v[78:79]                  // 000000004CC8: D3B1404E 18029D16
	v_pk_mul_f32 v[80:81], v[22:23], v[80:81]                  // 000000004CD0: D3B14050 1802A116
	v_pk_mul_f32 v[82:83], v[22:23], v[82:83]                  // 000000004CD8: D3B14052 1802A516
	v_pk_mul_f32 v[84:85], v[22:23], v[84:85]                  // 000000004CE0: D3B14054 1802A916
	v_pk_mul_f32 v[86:87], v[22:23], v[86:87]                  // 000000004CE8: D3B14056 1802AD16
	v_pk_mul_f32 v[88:89], v[22:23], v[88:89]                  // 000000004CF0: D3B14058 1802B116
	v_pk_mul_f32 v[90:91], v[22:23], v[90:91]                  // 000000004CF8: D3B1405A 1802B516
	v_pk_mul_f32 v[92:93], v[22:23], v[92:93]                  // 000000004D00: D3B1405C 1802B916
	v_pk_mul_f32 v[94:95], v[22:23], v[94:95]                  // 000000004D08: D3B1405E 1802BD16
	v_pk_mul_f32 v[96:97], v[22:23], v[96:97]                  // 000000004D10: D3B14060 1802C116
	v_pk_mul_f32 v[98:99], v[22:23], v[98:99]                  // 000000004D18: D3B14062 1802C516
	v_pk_mul_f32 v[100:101], v[22:23], v[100:101]              // 000000004D20: D3B14064 1802C916
	v_pk_mul_f32 v[102:103], v[22:23], v[102:103]              // 000000004D28: D3B14066 1802CD16
	v_pk_mul_f32 v[104:105], v[22:23], v[104:105]              // 000000004D30: D3B14068 1802D116
	v_pk_mul_f32 v[106:107], v[22:23], v[106:107]              // 000000004D38: D3B1406A 1802D516
	v_pk_mul_f32 v[108:109], v[22:23], v[108:109]              // 000000004D40: D3B1406C 1802D916
	v_pk_mul_f32 v[110:111], v[22:23], v[110:111]              // 000000004D48: D3B1406E 1802DD16
	v_pk_mul_f32 v[112:113], v[22:23], v[112:113]              // 000000004D50: D3B14070 1802E116
	v_pk_mul_f32 v[114:115], v[22:23], v[114:115]              // 000000004D58: D3B14072 1802E516
	v_pk_mul_f32 v[116:117], v[22:23], v[116:117]              // 000000004D60: D3B14074 1802E916
	v_pk_mul_f32 v[118:119], v[22:23], v[118:119]              // 000000004D68: D3B14076 1802ED16
	v_pk_mul_f32 v[120:121], v[22:23], v[120:121]              // 000000004D70: D3B14078 1802F116
	v_pk_mul_f32 v[122:123], v[22:23], v[122:123]              // 000000004D78: D3B1407A 1802F516
	v_pk_mul_f32 v[124:125], v[22:23], v[124:125]              // 000000004D80: D3B1407C 1802F916
	v_pk_mul_f32 v[126:127], v[22:23], v[126:127]              // 000000004D88: D3B1407E 1802FD16
	v_pk_mul_f32 v[128:129], v[22:23], v[128:129]              // 000000004D90: D3B14080 18030116
	v_pk_mul_f32 v[130:131], v[22:23], v[130:131]              // 000000004D98: D3B14082 18030516
	v_pk_mul_f32 v[132:133], v[22:23], v[132:133]              // 000000004DA0: D3B14084 18030916
	v_pk_mul_f32 v[134:135], v[22:23], v[134:135]              // 000000004DA8: D3B14086 18030D16
	v_pk_mul_f32 v[136:137], v[22:23], v[136:137]              // 000000004DB0: D3B14088 18031116
	v_pk_mul_f32 v[138:139], v[22:23], v[138:139]              // 000000004DB8: D3B1408A 18031516
	v_pk_mul_f32 v[140:141], v[22:23], v[140:141]              // 000000004DC0: D3B1408C 18031916
	v_pk_mul_f32 v[142:143], v[22:23], v[142:143]              // 000000004DC8: D3B1408E 18031D16
	v_pk_mul_f32 v[144:145], v[22:23], v[144:145]              // 000000004DD0: D3B14090 18032116
	v_pk_mul_f32 v[146:147], v[22:23], v[146:147]              // 000000004DD8: D3B14092 18032516
	v_pk_mul_f32 v[148:149], v[22:23], v[148:149]              // 000000004DE0: D3B14094 18032916
	v_pk_mul_f32 v[150:151], v[22:23], v[150:151]              // 000000004DE8: D3B14096 18032D16
	v_pk_mul_f32 v[152:153], v[22:23], v[152:153]              // 000000004DF0: D3B14098 18033116
	v_pk_mul_f32 v[154:155], v[22:23], v[154:155]              // 000000004DF8: D3B1409A 18033516
	v_pk_mul_f32 v[156:157], v[22:23], v[156:157]              // 000000004E00: D3B1409C 18033916
	v_pk_mul_f32 v[158:159], v[22:23], v[158:159]              // 000000004E08: D3B1409E 18033D16
	v_pk_mul_f32 v[160:161], v[22:23], v[160:161]              // 000000004E10: D3B140A0 18034116
	v_pk_mul_f32 v[162:163], v[22:23], v[162:163]              // 000000004E18: D3B140A2 18034516
	v_pk_mul_f32 v[164:165], v[22:23], v[164:165]              // 000000004E20: D3B140A4 18034916
	v_pk_mul_f32 v[166:167], v[22:23], v[166:167]              // 000000004E28: D3B140A6 18034D16
	s_waitcnt lgkmcnt(0)                                       // 000000004E30: BF8CC07F
	v_mfma_f32_16x16x16_bf16 v[40:43], a[144:145], v[32:33], v[40:43]// 000000004E34: D3E10028 0CA24190
	v_mfma_f32_16x16x16_bf16 v[44:47], a[146:147], v[32:33], v[44:47]// 000000004E3C: D3E1002C 0CB24192
	ds_read_b128 a[176:179], v7 offset:45312                   // 000000004E44: DBFEB100 B0000007
	ds_read_b128 a[180:183], v7 offset:46336                   // 000000004E4C: DBFEB500 B4000007
	v_mfma_f32_16x16x16_bf16 v[48:51], a[148:149], v[32:33], v[48:51]// 000000004E54: D3E10030 0CC24194
	v_mfma_f32_16x16x16_bf16 v[52:55], a[150:151], v[32:33], v[52:55]// 000000004E5C: D3E10034 0CD24196
	v_mfma_f32_16x16x16_bf16 v[56:59], a[152:153], v[32:33], v[56:59]// 000000004E64: D3E10038 0CE24198
	v_mfma_f32_16x16x16_bf16 v[60:63], a[154:155], v[32:33], v[60:63]// 000000004E6C: D3E1003C 0CF2419A
	ds_read_b128 a[184:187], v7 offset:47360                   // 000000004E74: DBFEB900 B8000007
	ds_read_b128 a[188:191], v7 offset:48384                   // 000000004E7C: DBFEBD00 BC000007
	v_mfma_f32_16x16x16_bf16 v[64:67], a[156:157], v[32:33], v[64:67]// 000000004E84: D3E10040 0D02419C
	v_mfma_f32_16x16x16_bf16 v[68:71], a[158:159], v[32:33], v[68:71]// 000000004E8C: D3E10044 0D12419E
	v_mfma_f32_16x16x16_bf16 v[72:75], a[160:161], v[32:33], v[72:75]// 000000004E94: D3E10048 0D2241A0
	v_mfma_f32_16x16x16_bf16 v[76:79], a[162:163], v[32:33], v[76:79]// 000000004E9C: D3E1004C 0D3241A2
	ds_read_b128 a[192:195], v7 offset:49408                   // 000000004EA4: DBFEC100 C0000007
	ds_read_b128 a[196:199], v7 offset:50432                   // 000000004EAC: DBFEC500 C4000007
	v_mfma_f32_16x16x16_bf16 v[80:83], a[164:165], v[32:33], v[80:83]// 000000004EB4: D3E10050 0D4241A4
	v_mfma_f32_16x16x16_bf16 v[84:87], a[166:167], v[32:33], v[84:87]// 000000004EBC: D3E10054 0D5241A6
	v_mfma_f32_16x16x16_bf16 v[88:91], a[168:169], v[32:33], v[88:91]// 000000004EC4: D3E10058 0D6241A8
	v_mfma_f32_16x16x16_bf16 v[92:95], a[170:171], v[32:33], v[92:95]// 000000004ECC: D3E1005C 0D7241AA
	ds_read_b128 a[200:203], v7 offset:51456                   // 000000004ED4: DBFEC900 C8000007
	ds_read_b128 a[204:207], v7 offset:52480                   // 000000004EDC: DBFECD00 CC000007
	v_mfma_f32_16x16x16_bf16 v[96:99], a[172:173], v[32:33], v[96:99]// 000000004EE4: D3E10060 0D8241AC
	v_mfma_f32_16x16x16_bf16 v[100:103], a[174:175], v[32:33], v[100:103]// 000000004EEC: D3E10064 0D9241AE
	s_waitcnt lgkmcnt(4)                                       // 000000004EF4: BF8CC47F
	v_mfma_f32_16x16x16_bf16 v[104:107], a[176:177], v[32:33], v[104:107]// 000000004EF8: D3E10068 0DA241B0
	v_mfma_f32_16x16x16_bf16 v[108:111], a[178:179], v[32:33], v[108:111]// 000000004F00: D3E1006C 0DB241B2
	v_mfma_f32_16x16x16_bf16 v[112:115], a[180:181], v[32:33], v[112:115]// 000000004F08: D3E10070 0DC241B4
	s_waitcnt vmcnt(18) lgkmcnt(0)                             // 000000004F10: BF8C4072
	s_barrier                                                  // 000000004F14: BF8A0000
	v_mfma_f32_16x16x16_bf16 v[116:119], a[182:183], v[32:33], v[116:119]// 000000004F18: D3E10074 0DD241B6
	ds_read_b64 v[20:21], v5 offset:18560                      // 000000004F20: D8EC4880 14000005
	ds_read_b64 v[22:23], v5 offset:23200                      // 000000004F28: D8EC5AA0 16000005
	v_mfma_f32_16x16x16_bf16 v[120:123], a[184:185], v[32:33], v[120:123]// 000000004F30: D3E10078 0DE241B8
	ds_read_b64 v[24:25], v5 offset:27840                      // 000000004F38: D8EC6CC0 18000005
	ds_read_b64 v[26:27], v5 offset:32480                      // 000000004F40: D8EC7EE0 1A000005
	v_mfma_f32_16x16x16_bf16 v[124:127], a[186:187], v[32:33], v[124:127]// 000000004F48: D3E1007C 0DF241BA
	ds_read_b128 a[144:147], v4 offset:18560                   // 000000004F50: DBFE4880 90000004
	v_mfma_f32_16x16x16_bf16 v[128:131], a[188:189], v[32:33], v[128:131]// 000000004F58: D3E10080 0E0241BC
	ds_read_b128 a[148:151], v4 offset:18624                   // 000000004F60: DBFE48C0 94000004
	v_mfma_f32_16x16x16_bf16 v[132:135], a[190:191], v[32:33], v[132:135]// 000000004F68: D3E10084 0E1241BE
	ds_read_b128 a[152:155], v4 offset:18816                   // 000000004F70: DBFE4980 98000004
	v_mfma_f32_16x16x16_bf16 v[136:139], a[192:193], v[32:33], v[136:139]// 000000004F78: D3E10088 0E2241C0
	ds_read_b128 a[156:159], v4 offset:18880                   // 000000004F80: DBFE49C0 9C000004
	v_mfma_f32_16x16x16_bf16 v[140:143], a[194:195], v[32:33], v[140:143]// 000000004F88: D3E1008C 0E3241C2
	ds_read_b128 a[160:163], v4 offset:19072                   // 000000004F90: DBFE4A80 A0000004
	v_mfma_f32_16x16x16_bf16 v[144:147], a[196:197], v[32:33], v[144:147]// 000000004F98: D3E10090 0E4241C4
	ds_read_b128 a[164:167], v4 offset:19136                   // 000000004FA0: DBFE4AC0 A4000004
	v_mfma_f32_16x16x16_bf16 v[148:151], a[198:199], v[32:33], v[148:151]// 000000004FA8: D3E10094 0E5241C6
	ds_read_b128 a[168:171], v4 offset:19328                   // 000000004FB0: DBFE4B80 A8000004
	v_mfma_f32_16x16x16_bf16 v[152:155], a[200:201], v[32:33], v[152:155]// 000000004FB8: D3E10098 0E6241C8
	ds_read_b128 a[172:175], v4 offset:19392                   // 000000004FC0: DBFE4BC0 AC000004
	v_mfma_f32_16x16x16_bf16 v[156:159], a[202:203], v[32:33], v[156:159]// 000000004FC8: D3E1009C 0E7241CA
	s_waitcnt lgkmcnt(8)                                       // 000000004FD0: BF8CC87F
	v_perm_b32 v168, v22, v20, s53                             // 000000004FD4: D1ED00A8 00D62916
	v_perm_b32 v170, v22, v20, s52                             // 000000004FDC: D1ED00AA 00D22916
	v_perm_b32 v169, v26, v24, s53                             // 000000004FE4: D1ED00A9 00D6311A
	v_perm_b32 v171, v26, v24, s52                             // 000000004FEC: D1ED00AB 00D2311A
	v_mfma_f32_16x16x16_bf16 v[160:163], a[204:205], v[32:33], v[160:163]// 000000004FF4: D3E100A0 0E8241CC
	ds_write_b128 v6, v[168:171] offset:37120                  // 000000004FFC: D9BE9100 0000A806
	v_perm_b32 v168, v23, v21, s53                             // 000000005004: D1ED00A8 00D62B17
	v_perm_b32 v170, v23, v21, s52                             // 00000000500C: D1ED00AA 00D22B17
	v_perm_b32 v169, v27, v25, s53                             // 000000005014: D1ED00A9 00D6331B
	v_perm_b32 v171, v27, v25, s52                             // 00000000501C: D1ED00AB 00D2331B
	v_mfma_f32_16x16x16_bf16 v[164:167], a[206:207], v[32:33], v[164:167]// 000000005024: D3E100A4 0E9241CE
	ds_write_b128 v6, v[168:171] offset:38144                  // 00000000502C: D9BE9500 0000A806
	ds_read_b64 v[20:21], v5 offset:19584                      // 000000005034: D8EC4C80 14000005
	ds_read_b64 v[22:23], v5 offset:24224                      // 00000000503C: D8EC5EA0 16000005
	ds_read_b64 v[24:25], v5 offset:28864                      // 000000005044: D8EC70C0 18000005
	ds_read_b64 v[26:27], v5 offset:33504                      // 00000000504C: D8EC82E0 1A000005
	s_nop 0                                                    // 000000005054: BF800000
	s_addk_i32 s70, 0x1                                        // 000000005058: B7460001
	s_cmp_lt_i32 s70, s71                                      // 00000000505C: BF044746
	s_cbranch_scc0 label_0932                                  // 000000005060: BF84FD99
	s_waitcnt lgkmcnt(4)                                       // 000000005064: BF8CC47F
	v_mfma_f32_16x16x16_bf16 v[32:35], a[144:145], a[0:1], 0   // 000000005068: D3E10020 1A020190
	buffer_load_dword v11, v8, s[24:27], 0 offen               // 000000005070: E0501000 80060B08
	v_mfma_f32_16x16x16_bf16 v[32:35], a[146:147], a[2:3], v[32:35]// 000000005078: D3E10020 1C820592
	ds_read_b128 a[176:179], v4 offset:19584                   // 000000005080: DBFE4C80 B0000004
	ds_read_b128 a[180:183], v4 offset:19648                   // 000000005088: DBFE4CC0 B4000004
	v_mfma_f32_16x16x16_bf16 v[32:35], a[148:149], a[4:5], v[32:35]// 000000005090: D3E10020 1C820994
	v_mfma_f32_16x16x16_bf16 v[32:35], a[150:151], a[6:7], v[32:35]// 000000005098: D3E10020 1C820D96
	v_mfma_f32_16x16x16_bf16 v[32:35], a[152:153], a[8:9], v[32:35]// 0000000050A0: D3E10020 1C821198
	v_mfma_f32_16x16x16_bf16 v[32:35], a[154:155], a[10:11], v[32:35]// 0000000050A8: D3E10020 1C82159A
	ds_read_b128 a[184:187], v4 offset:19840                   // 0000000050B0: DBFE4D80 B8000004
	ds_read_b128 a[188:191], v4 offset:19904                   // 0000000050B8: DBFE4DC0 BC000004
	v_mfma_f32_16x16x16_bf16 v[32:35], a[156:157], a[12:13], v[32:35]// 0000000050C0: D3E10020 1C82199C
	v_mfma_f32_16x16x16_bf16 v[32:35], a[158:159], a[14:15], v[32:35]// 0000000050C8: D3E10020 1C821D9E
	s_waitcnt lgkmcnt(4)                                       // 0000000050D0: BF8CC47F
	v_mfma_f32_16x16x16_bf16 v[32:35], a[160:161], a[16:17], v[32:35]// 0000000050D4: D3E10020 1C8221A0
	v_mfma_f32_16x16x16_bf16 v[32:35], a[162:163], a[18:19], v[32:35]// 0000000050DC: D3E10020 1C8225A2
	ds_read_b128 a[192:195], v4 offset:20096                   // 0000000050E4: DBFE4E80 C0000004
	ds_read_b128 a[196:199], v4 offset:20160                   // 0000000050EC: DBFE4EC0 C4000004
	v_mfma_f32_16x16x16_bf16 v[32:35], a[164:165], a[20:21], v[32:35]// 0000000050F4: D3E10020 1C8229A4
	v_mfma_f32_16x16x16_bf16 v[32:35], a[166:167], a[22:23], v[32:35]// 0000000050FC: D3E10020 1C822DA6
	v_mfma_f32_16x16x16_bf16 v[32:35], a[168:169], a[24:25], v[32:35]// 000000005104: D3E10020 1C8231A8
	v_mfma_f32_16x16x16_bf16 v[32:35], a[170:171], a[26:27], v[32:35]// 00000000510C: D3E10020 1C8235AA
	ds_read_b128 a[200:203], v4 offset:20352                   // 000000005114: DBFE4F80 C8000004
	ds_read_b128 a[204:207], v4 offset:20416                   // 00000000511C: DBFE4FC0 CC000004
	v_mfma_f32_16x16x16_bf16 v[32:35], a[172:173], a[28:29], v[32:35]// 000000005124: D3E10020 1C8239AC
	v_mfma_f32_16x16x16_bf16 v[32:35], a[174:175], a[30:31], v[32:35]// 00000000512C: D3E10020 1C823DAE
	s_waitcnt lgkmcnt(4)                                       // 000000005134: BF8CC47F
	s_barrier                                                  // 000000005138: BF8A0000
	v_mfma_f32_16x16x16_bf16 v[32:35], a[176:177], a[32:33], v[32:35]// 00000000513C: D3E10020 1C8241B0
	v_mfma_f32_16x16x16_bf16 v[32:35], a[178:179], a[34:35], v[32:35]// 000000005144: D3E10020 1C8245B2
	ds_read_b128 a[208:211], v4 offset:20608                   // 00000000514C: DBFE5080 D0000004
	ds_read_b128 a[212:215], v4 offset:20672                   // 000000005154: DBFE50C0 D4000004
	v_mfma_f32_16x16x16_bf16 v[32:35], a[180:181], a[36:37], v[32:35]// 00000000515C: D3E10020 1C8249B4
	buffer_load_dword v18, s[20:23], 0 offen lds               // 000000005164: E0511000 80050012
	s_add_u32 m0, 0, s37                                       // 00000000516C: 807C2580
	v_mfma_f32_16x16x16_bf16 v[32:35], a[182:183], a[38:39], v[32:35]// 000000005170: D3E10020 1C824DB6
	v_perm_b32 v168, v22, v20, s53                             // 000000005178: D1ED00A8 00D62916
	v_perm_b32 v170, v22, v20, s52                             // 000000005180: D1ED00AA 00D22916
	v_perm_b32 v169, v26, v24, s53                             // 000000005188: D1ED00A9 00D6311A
	v_perm_b32 v171, v26, v24, s52                             // 000000005190: D1ED00AB 00D2311A
	v_mfma_f32_16x16x16_bf16 v[32:35], a[184:185], a[40:41], v[32:35]// 000000005198: D3E10020 1C8251B8
	buffer_load_dword v19, s[20:23], 0 offen lds               // 0000000051A0: E0511000 80050013
	s_add_u32 m0, 0x80, s36                                    // 0000000051A8: 807C24FF 00000080
	v_mfma_f32_16x16x16_bf16 v[32:35], a[186:187], a[42:43], v[32:35]// 0000000051B0: D3E10020 1C8255BA
	ds_write_b128 v6, v[168:171] offset:45312                  // 0000000051B8: D9BEB100 0000A806
	v_mfma_f32_16x16x16_bf16 v[32:35], a[188:189], a[44:45], v[32:35]// 0000000051C0: D3E10020 1C8259BC
	buffer_load_dword v18, s[20:23], 0 offen offset:128 lds    // 0000000051C8: E0511080 80050012
	s_add_u32 m0, 0x80, s37                                    // 0000000051D0: 807C25FF 00000080
	v_mfma_f32_16x16x16_bf16 v[32:35], a[190:191], a[46:47], v[32:35]// 0000000051D8: D3E10020 1C825DBE
	v_perm_b32 v168, v23, v21, s53                             // 0000000051E0: D1ED00A8 00D62B17
	v_perm_b32 v170, v23, v21, s52                             // 0000000051E8: D1ED00AA 00D22B17
	v_perm_b32 v169, v27, v25, s53                             // 0000000051F0: D1ED00A9 00D6331B
	v_perm_b32 v171, v27, v25, s52                             // 0000000051F8: D1ED00AB 00D2331B
	s_waitcnt lgkmcnt(1)                                       // 000000005200: BF8CC17F
	v_mfma_f32_16x16x16_bf16 v[32:35], a[192:193], a[48:49], v[32:35]// 000000005204: D3E10020 1C8261C0
	buffer_load_dword v19, s[20:23], 0 offen offset:128 lds    // 00000000520C: E0511080 80050013
	s_add_u32 m0, 0x100, s36                                   // 000000005214: 807C24FF 00000100
	v_mfma_f32_16x16x16_bf16 v[32:35], a[194:195], a[50:51], v[32:35]// 00000000521C: D3E10020 1C8265C2
	ds_write_b128 v6, v[168:171] offset:46336                  // 000000005224: D9BEB500 0000A806
	v_mfma_f32_16x16x16_bf16 v[32:35], a[196:197], a[52:53], v[32:35]// 00000000522C: D3E10020 1C8269C4
	buffer_load_dword v18, s[20:23], 0 offen offset:256 lds    // 000000005234: E0511100 80050012
	s_add_u32 m0, 0x100, s37                                   // 00000000523C: 807C25FF 00000100
	v_mfma_f32_16x16x16_bf16 v[32:35], a[198:199], a[54:55], v[32:35]// 000000005244: D3E10020 1C826DC6
	v_mfma_f32_16x16x16_bf16 v[32:35], a[200:201], a[56:57], v[32:35]// 00000000524C: D3E10020 1C8271C8
	buffer_load_dword v19, s[20:23], 0 offen offset:256 lds    // 000000005254: E0511100 80050013
	s_add_u32 m0, 0x180, s36                                   // 00000000525C: 807C24FF 00000180
	v_mfma_f32_16x16x16_bf16 v[32:35], a[202:203], a[58:59], v[32:35]// 000000005264: D3E10020 1C8275CA
	v_mfma_f32_16x16x16_bf16 v[32:35], a[204:205], a[60:61], v[32:35]// 00000000526C: D3E10020 1C8279CC
	buffer_load_dword v18, s[20:23], 0 offen offset:384 lds    // 000000005274: E0511180 80050012
	s_add_u32 m0, 0x180, s37                                   // 00000000527C: 807C25FF 00000180
	v_mfma_f32_16x16x16_bf16 v[32:35], a[206:207], a[62:63], v[32:35]// 000000005284: D3E10020 1C827DCE
	v_mfma_f32_16x16x16_bf16 v[32:35], a[208:209], a[64:65], v[32:35]// 00000000528C: D3E10020 1C8281D0
	buffer_load_dword v19, s[20:23], 0 offen offset:384 lds    // 000000005294: E0511180 80050013
	s_add_u32 m0, 0x200, s36                                   // 00000000529C: 807C24FF 00000200
	v_mfma_f32_16x16x16_bf16 v[32:35], a[210:211], a[66:67], v[32:35]// 0000000052A4: D3E10020 1C8285D2
	v_mfma_f32_16x16x16_bf16 v[32:35], a[212:213], a[68:69], v[32:35]// 0000000052AC: D3E10020 1C8289D4
	buffer_load_dword v18, s[20:23], 0 offen offset:512 lds    // 0000000052B4: E0511200 80050012
	s_add_u32 m0, 0x200, s37                                   // 0000000052BC: 807C25FF 00000200
	v_mfma_f32_16x16x16_bf16 v[32:35], a[214:215], a[70:71], v[32:35]// 0000000052C4: D3E10020 1C828DD6
	v_add_u32_e32 v8, s73, v8                                  // 0000000052CC: 68101049
	s_cmp_le_i32 s83, s82                                      // 0000000052D0: BF055253
	s_cbranch_scc1 label_0C5A                                  // 0000000052D4: BF850024
	v_mov_b32_e32 v25, 0xff800000                              // 0000000052D8: 7E3202FF FF800000
	s_add_u32 s57, s82, 0                                      // 0000000052E0: 80398052
	v_mov_b32_e32 v24, s57                                     // 0000000052E4: 7E300239
	v_add_u32_e32 v24, s7, v24                                 // 0000000052E8: 68303007
	s_sub_u32 s56, s83, 15                                     // 0000000052EC: 80B88F53
	v_lshrrev_b32_e32 v20, 4, v0                               // 0000000052F0: 20280084
	v_mul_i32_i24_e32 v20, 4, v20                              // 0000000052F4: 0C282884
	v_add_u32_e32 v20, s56, v20                                // 0000000052F8: 68282838
	v_add_u32_e32 v21, 1, v20                                  // 0000000052FC: 682A2881
	v_add_u32_e32 v22, 2, v20                                  // 000000005300: 682C2882
	v_add_u32_e32 v23, 3, v20                                  // 000000005304: 682E2883
	v_cmp_le_u32_e64 s[38:39], v20, v24                        // 000000005308: D0CB0026 00023114
	v_add_u32_e32 v20, 64, v20                                 // 000000005310: 682828C0
	s_nop 0                                                    // 000000005314: BF800000
	v_cndmask_b32_e64 v32, v25, v32, s[38:39]                  // 000000005318: D1000020 009A4119
	v_cmp_le_u32_e64 s[38:39], v21, v24                        // 000000005320: D0CB0026 00023115
	v_add_u32_e32 v21, 64, v21                                 // 000000005328: 682A2AC0
	s_nop 0                                                    // 00000000532C: BF800000
	v_cndmask_b32_e64 v33, v25, v33, s[38:39]                  // 000000005330: D1000021 009A4319
	v_cmp_le_u32_e64 s[38:39], v22, v24                        // 000000005338: D0CB0026 00023116
	v_add_u32_e32 v22, 64, v22                                 // 000000005340: 682C2CC0
	s_nop 0                                                    // 000000005344: BF800000
	v_cndmask_b32_e64 v34, v25, v34, s[38:39]                  // 000000005348: D1000022 009A4519
	v_cmp_le_u32_e64 s[38:39], v23, v24                        // 000000005350: D0CB0026 00023117
	v_add_u32_e32 v23, 64, v23                                 // 000000005358: 682E2EC0
	s_nop 0                                                    // 00000000535C: BF800000
	v_cndmask_b32_e64 v35, v25, v35, s[38:39]                  // 000000005360: D1000023 009A4719

0000000000005368 <label_0C5A>:
	s_waitcnt lgkmcnt(0)                                       // 000000005368: BF8CC07F
	s_barrier                                                  // 00000000536C: BF8A0000
	v_max3_f32 v24, v32, v33, v32                              // 000000005370: D1D30018 04824320
	v_max3_f32 v24, v34, v35, v24                              // 000000005378: D1D30018 04624722
	ds_write_b32 v3, v24 offset:53504                          // 000000005380: D81AD100 00001803
	buffer_load_dword v19, s[20:23], 0 offen offset:512 lds    // 000000005388: E0511200 80050013
	s_add_u32 m0, 0x280, s36                                   // 000000005390: 807C24FF 00000280
	buffer_load_dword v18, s[20:23], 0 offen offset:640 lds    // 000000005398: E0511280 80050012
	s_add_u32 m0, 0x280, s37                                   // 0000000053A0: 807C25FF 00000280
	s_waitcnt lgkmcnt(0)                                       // 0000000053A8: BF8CC07F
	ds_read_b32 v20, v2 offset:53504                           // 0000000053AC: D86CD100 14000002
	ds_read_b32 v21, v2 offset:53568                           // 0000000053B4: D86CD140 15000002
	ds_read_b32 v22, v2 offset:53632                           // 0000000053BC: D86CD180 16000002
	ds_read_b32 v23, v2 offset:53696                           // 0000000053C4: D86CD1C0 17000002
	buffer_load_dword v19, s[20:23], 0 offen offset:640 lds    // 0000000053CC: E0511280 80050013
	s_add_u32 m0, 0x300, s36                                   // 0000000053D4: 807C24FF 00000300
	buffer_load_dword v18, s[20:23], 0 offen offset:768 lds    // 0000000053DC: E0511300 80050012
	s_add_u32 m0, 0x300, s37                                   // 0000000053E4: 807C25FF 00000300
	buffer_load_dword v19, s[20:23], 0 offen offset:768 lds    // 0000000053EC: E0511300 80050013
	s_add_u32 m0, 0x380, s36                                   // 0000000053F4: 807C24FF 00000380
	s_waitcnt lgkmcnt(0)                                       // 0000000053FC: BF8CC07F
	v_max3_f32 v24, v20, v21, v24                              // 000000005400: D1D30018 04622B14
	v_max3_f32 v24, v22, v23, v24                              // 000000005408: D1D30018 04622F16
	buffer_load_dword v18, s[20:23], 0 offen offset:896 lds    // 000000005410: E0511380 80050012
	s_add_u32 m0, 0x380, s37                                   // 000000005418: 807C25FF 00000380
	buffer_load_dword v19, s[20:23], 0 offen offset:896 lds    // 000000005420: E0511380 80050013
	s_add_u32 m0, 0x400, s36                                   // 000000005428: 807C24FF 00000400
	buffer_load_dword v18, s[20:23], 0 offen offset:1024 lds   // 000000005430: E0511400 80050012
	s_add_u32 m0, 0x400, s37                                   // 000000005438: 807C25FF 00000400
	ds_read_b128 a[144:147], v7 offset:37120                   // 000000005440: DBFE9100 90000007
	ds_read_b128 a[148:151], v7 offset:38144                   // 000000005448: DBFE9500 94000007
	buffer_load_dword v19, s[20:23], 0 offen offset:1024 lds   // 000000005450: E0511400 80050013
	s_add_u32 m0, 0x480, s36                                   // 000000005458: 807C24FF 00000480
	ds_read_b128 a[152:155], v7 offset:39168                   // 000000005460: DBFE9900 98000007
	ds_read_b128 a[156:159], v7 offset:40192                   // 000000005468: DBFE9D00 9C000007
	ds_read_b128 a[160:163], v7 offset:41216                   // 000000005470: DBFEA100 A0000007
	ds_read_b128 a[164:167], v7 offset:42240                   // 000000005478: DBFEA500 A4000007
	ds_read_b128 a[168:171], v7 offset:43264                   // 000000005480: DBFEA900 A8000007
	ds_read_b128 a[172:175], v7 offset:44288                   // 000000005488: DBFEAD00 AC000007
	v_mov_b32_e32 v25, 0xff7fffff                              // 000000005490: 7E3202FF FF7FFFFF
	v_cmp_eq_u32_e64 s[38:39], v25, v12                        // 000000005498: D0CA0026 00021919
	v_max_f32_e32 v20, v24, v12                                // 0000000054A0: 16281918
	v_sub_f32_e32 v16, v12, v20                                // 0000000054A4: 0420290C
	v_cndmask_b32_e64 v16, v16, 0, s[38:39]                    // 0000000054A8: D1000010 00990110
	v_mov_b32_e32 v12, v20                                     // 0000000054B0: 7E180314
	v_mul_f32_e32 v21, s5, v20                                 // 0000000054B4: 0A2A2805
	v_mul_f32_e32 v16, s5, v16                                 // 0000000054B8: 0A202005
	v_exp_f32_e32 v16, v16                                     // 0000000054BC: 7E204110
	v_fma_f32 v32, v32, s5, -v21                               // 0000000054C0: D1CB0020 84540B20
	v_fma_f32 v33, v33, s5, -v21                               // 0000000054C8: D1CB0021 84540B21
	v_fma_f32 v34, v34, s5, -v21                               // 0000000054D0: D1CB0022 84540B22
	v_fma_f32 v35, v35, s5, -v21                               // 0000000054D8: D1CB0023 84540B23
	v_exp_f32_e32 v32, v32                                     // 0000000054E0: 7E404120
	v_exp_f32_e32 v33, v33                                     // 0000000054E4: 7E424121
	v_exp_f32_e32 v34, v34                                     // 0000000054E8: 7E444122
	v_exp_f32_e32 v35, v35                                     // 0000000054EC: 7E464123
	v_mul_f32_e32 v14, v16, v14                                // 0000000054F0: 0A1C1D10
	v_mov_b32_e32 v22, v32                                     // 0000000054F4: 7E2C0320
	v_add_f32_e32 v22, v33, v22                                // 0000000054F8: 022C2D21
	v_add_f32_e32 v22, v34, v22                                // 0000000054FC: 022C2D22
	v_add_f32_e32 v22, v35, v22                                // 000000005500: 022C2D23
	v_add_f32_e32 v14, v22, v14                                // 000000005504: 021C1D16
	v_mov_b32_e32 v29, 0xffff0000                              // 000000005508: 7E3A02FF FFFF0000
	v_mov_b32_e32 v30, 0x7fff0000                              // 000000005510: 7E3C02FF 7FFF0000
	v_mov_b32_e32 v31, 0x7fff                                  // 000000005518: 7E3E02FF 00007FFF
	v_cmp_u_f32_e64 s[38:39], v32, v32                         // 000000005520: D0480026 00024120
	v_add3_u32 v28, v32, v31, 1                                // 000000005528: D1FF001C 02063F20
	v_cndmask_b32_e64 v20, v28, v30, s[38:39]                  // 000000005530: D1000014 009A3D1C
	v_cmp_u_f32_e64 s[38:39], v33, v33                         // 000000005538: D0480026 00024321
	v_add3_u32 v28, v33, v31, 1                                // 000000005540: D1FF001C 02063F21
	v_cndmask_b32_e64 v21, v28, v30, s[38:39]                  // 000000005548: D1000015 009A3D1C
	v_perm_b32 v32, v21, v20, s52                              // 000000005550: D1ED0020 00D22915
	v_cmp_u_f32_e64 s[38:39], v34, v34                         // 000000005558: D0480026 00024522
	v_add3_u32 v28, v34, v31, 1                                // 000000005560: D1FF001C 02063F22
	v_cndmask_b32_e64 v20, v28, v30, s[38:39]                  // 000000005568: D1000014 009A3D1C
	v_cmp_u_f32_e64 s[38:39], v35, v35                         // 000000005570: D0480026 00024723
	v_add3_u32 v28, v35, v31, 1                                // 000000005578: D1FF001C 02063F23
	v_cndmask_b32_e64 v21, v28, v30, s[38:39]                  // 000000005580: D1000015 009A3D1C
	v_perm_b32 v33, v21, v20, s52                              // 000000005588: D1ED0021 00D22915
	s_nop 2                                                    // 000000005590: BF800002
	s_add_u32 s83, s84, s83                                    // 000000005594: 80535354
	s_nop 0                                                    // 000000005598: BF800000
	v_mul_u32_u24_dpp v18, v10, v9 row_newbcast:0 row_mask:0xf bank_mask:0xf// 00000000559C: 102412FA FF01500A
	v_mul_u32_u24_dpp v19, v10, v9 row_newbcast:8 row_mask:0xf bank_mask:0xf// 0000000055A4: 102612FA FF01580A
	v_add_u32_e32 v18, v18, v1                                 // 0000000055AC: 68240312
	v_add_u32_e32 v19, v19, v1                                 // 0000000055B0: 68260313
	s_mov_b32 m0, s34                                          // 0000000055B4: BEFC0022
	v_mov_b32_e32 v22, v16                                     // 0000000055B8: 7E2C0310
	v_mov_b32_e32 v23, v16                                     // 0000000055BC: 7E2E0310
	v_pk_mul_f32 v[40:41], v[22:23], v[40:41]                  // 0000000055C0: D3B14028 18025116
	v_pk_mul_f32 v[42:43], v[22:23], v[42:43]                  // 0000000055C8: D3B1402A 18025516
	v_pk_mul_f32 v[44:45], v[22:23], v[44:45]                  // 0000000055D0: D3B1402C 18025916
	v_pk_mul_f32 v[46:47], v[22:23], v[46:47]                  // 0000000055D8: D3B1402E 18025D16
	v_pk_mul_f32 v[48:49], v[22:23], v[48:49]                  // 0000000055E0: D3B14030 18026116
	v_pk_mul_f32 v[50:51], v[22:23], v[50:51]                  // 0000000055E8: D3B14032 18026516
	v_pk_mul_f32 v[52:53], v[22:23], v[52:53]                  // 0000000055F0: D3B14034 18026916
	v_pk_mul_f32 v[54:55], v[22:23], v[54:55]                  // 0000000055F8: D3B14036 18026D16
	v_pk_mul_f32 v[56:57], v[22:23], v[56:57]                  // 000000005600: D3B14038 18027116
	v_pk_mul_f32 v[58:59], v[22:23], v[58:59]                  // 000000005608: D3B1403A 18027516
	v_pk_mul_f32 v[60:61], v[22:23], v[60:61]                  // 000000005610: D3B1403C 18027916
	v_pk_mul_f32 v[62:63], v[22:23], v[62:63]                  // 000000005618: D3B1403E 18027D16
	v_pk_mul_f32 v[64:65], v[22:23], v[64:65]                  // 000000005620: D3B14040 18028116
	v_pk_mul_f32 v[66:67], v[22:23], v[66:67]                  // 000000005628: D3B14042 18028516
	v_pk_mul_f32 v[68:69], v[22:23], v[68:69]                  // 000000005630: D3B14044 18028916
	v_pk_mul_f32 v[70:71], v[22:23], v[70:71]                  // 000000005638: D3B14046 18028D16
	v_pk_mul_f32 v[72:73], v[22:23], v[72:73]                  // 000000005640: D3B14048 18029116
	v_pk_mul_f32 v[74:75], v[22:23], v[74:75]                  // 000000005648: D3B1404A 18029516
	v_pk_mul_f32 v[76:77], v[22:23], v[76:77]                  // 000000005650: D3B1404C 18029916
	v_pk_mul_f32 v[78:79], v[22:23], v[78:79]                  // 000000005658: D3B1404E 18029D16
	v_pk_mul_f32 v[80:81], v[22:23], v[80:81]                  // 000000005660: D3B14050 1802A116
	v_pk_mul_f32 v[82:83], v[22:23], v[82:83]                  // 000000005668: D3B14052 1802A516
	v_pk_mul_f32 v[84:85], v[22:23], v[84:85]                  // 000000005670: D3B14054 1802A916
	v_pk_mul_f32 v[86:87], v[22:23], v[86:87]                  // 000000005678: D3B14056 1802AD16
	v_pk_mul_f32 v[88:89], v[22:23], v[88:89]                  // 000000005680: D3B14058 1802B116
	v_pk_mul_f32 v[90:91], v[22:23], v[90:91]                  // 000000005688: D3B1405A 1802B516
	v_pk_mul_f32 v[92:93], v[22:23], v[92:93]                  // 000000005690: D3B1405C 1802B916
	v_pk_mul_f32 v[94:95], v[22:23], v[94:95]                  // 000000005698: D3B1405E 1802BD16
	v_pk_mul_f32 v[96:97], v[22:23], v[96:97]                  // 0000000056A0: D3B14060 1802C116
	v_pk_mul_f32 v[98:99], v[22:23], v[98:99]                  // 0000000056A8: D3B14062 1802C516
	v_pk_mul_f32 v[100:101], v[22:23], v[100:101]              // 0000000056B0: D3B14064 1802C916
	v_pk_mul_f32 v[102:103], v[22:23], v[102:103]              // 0000000056B8: D3B14066 1802CD16
	v_pk_mul_f32 v[104:105], v[22:23], v[104:105]              // 0000000056C0: D3B14068 1802D116
	v_pk_mul_f32 v[106:107], v[22:23], v[106:107]              // 0000000056C8: D3B1406A 1802D516
	v_pk_mul_f32 v[108:109], v[22:23], v[108:109]              // 0000000056D0: D3B1406C 1802D916
	v_pk_mul_f32 v[110:111], v[22:23], v[110:111]              // 0000000056D8: D3B1406E 1802DD16
	v_pk_mul_f32 v[112:113], v[22:23], v[112:113]              // 0000000056E0: D3B14070 1802E116
	v_pk_mul_f32 v[114:115], v[22:23], v[114:115]              // 0000000056E8: D3B14072 1802E516
	v_pk_mul_f32 v[116:117], v[22:23], v[116:117]              // 0000000056F0: D3B14074 1802E916
	v_pk_mul_f32 v[118:119], v[22:23], v[118:119]              // 0000000056F8: D3B14076 1802ED16
	v_pk_mul_f32 v[120:121], v[22:23], v[120:121]              // 000000005700: D3B14078 1802F116
	v_pk_mul_f32 v[122:123], v[22:23], v[122:123]              // 000000005708: D3B1407A 1802F516
	v_pk_mul_f32 v[124:125], v[22:23], v[124:125]              // 000000005710: D3B1407C 1802F916
	v_pk_mul_f32 v[126:127], v[22:23], v[126:127]              // 000000005718: D3B1407E 1802FD16
	v_pk_mul_f32 v[128:129], v[22:23], v[128:129]              // 000000005720: D3B14080 18030116
	v_pk_mul_f32 v[130:131], v[22:23], v[130:131]              // 000000005728: D3B14082 18030516
	v_pk_mul_f32 v[132:133], v[22:23], v[132:133]              // 000000005730: D3B14084 18030916
	v_pk_mul_f32 v[134:135], v[22:23], v[134:135]              // 000000005738: D3B14086 18030D16
	v_pk_mul_f32 v[136:137], v[22:23], v[136:137]              // 000000005740: D3B14088 18031116
	v_pk_mul_f32 v[138:139], v[22:23], v[138:139]              // 000000005748: D3B1408A 18031516
	v_pk_mul_f32 v[140:141], v[22:23], v[140:141]              // 000000005750: D3B1408C 18031916
	v_pk_mul_f32 v[142:143], v[22:23], v[142:143]              // 000000005758: D3B1408E 18031D16
	v_pk_mul_f32 v[144:145], v[22:23], v[144:145]              // 000000005760: D3B14090 18032116
	v_pk_mul_f32 v[146:147], v[22:23], v[146:147]              // 000000005768: D3B14092 18032516
	v_pk_mul_f32 v[148:149], v[22:23], v[148:149]              // 000000005770: D3B14094 18032916
	v_pk_mul_f32 v[150:151], v[22:23], v[150:151]              // 000000005778: D3B14096 18032D16
	v_pk_mul_f32 v[152:153], v[22:23], v[152:153]              // 000000005780: D3B14098 18033116
	v_pk_mul_f32 v[154:155], v[22:23], v[154:155]              // 000000005788: D3B1409A 18033516
	v_pk_mul_f32 v[156:157], v[22:23], v[156:157]              // 000000005790: D3B1409C 18033916
	v_pk_mul_f32 v[158:159], v[22:23], v[158:159]              // 000000005798: D3B1409E 18033D16
	v_pk_mul_f32 v[160:161], v[22:23], v[160:161]              // 0000000057A0: D3B140A0 18034116
	v_pk_mul_f32 v[162:163], v[22:23], v[162:163]              // 0000000057A8: D3B140A2 18034516
	v_pk_mul_f32 v[164:165], v[22:23], v[164:165]              // 0000000057B0: D3B140A4 18034916
	v_pk_mul_f32 v[166:167], v[22:23], v[166:167]              // 0000000057B8: D3B140A6 18034D16
	s_waitcnt lgkmcnt(0)                                       // 0000000057C0: BF8CC07F
	v_mfma_f32_16x16x16_bf16 v[40:43], a[144:145], v[32:33], v[40:43]// 0000000057C4: D3E10028 0CA24190
	v_mfma_f32_16x16x16_bf16 v[44:47], a[146:147], v[32:33], v[44:47]// 0000000057CC: D3E1002C 0CB24192
	ds_read_b128 a[176:179], v7 offset:45312                   // 0000000057D4: DBFEB100 B0000007
	ds_read_b128 a[180:183], v7 offset:46336                   // 0000000057DC: DBFEB500 B4000007
	v_mfma_f32_16x16x16_bf16 v[48:51], a[148:149], v[32:33], v[48:51]// 0000000057E4: D3E10030 0CC24194
	v_mfma_f32_16x16x16_bf16 v[52:55], a[150:151], v[32:33], v[52:55]// 0000000057EC: D3E10034 0CD24196
	v_mfma_f32_16x16x16_bf16 v[56:59], a[152:153], v[32:33], v[56:59]// 0000000057F4: D3E10038 0CE24198
	v_mfma_f32_16x16x16_bf16 v[60:63], a[154:155], v[32:33], v[60:63]// 0000000057FC: D3E1003C 0CF2419A
	ds_read_b128 a[184:187], v7 offset:47360                   // 000000005804: DBFEB900 B8000007
	ds_read_b128 a[188:191], v7 offset:48384                   // 00000000580C: DBFEBD00 BC000007
	v_mfma_f32_16x16x16_bf16 v[64:67], a[156:157], v[32:33], v[64:67]// 000000005814: D3E10040 0D02419C
	v_mfma_f32_16x16x16_bf16 v[68:71], a[158:159], v[32:33], v[68:71]// 00000000581C: D3E10044 0D12419E
	v_mfma_f32_16x16x16_bf16 v[72:75], a[160:161], v[32:33], v[72:75]// 000000005824: D3E10048 0D2241A0
	v_mfma_f32_16x16x16_bf16 v[76:79], a[162:163], v[32:33], v[76:79]// 00000000582C: D3E1004C 0D3241A2
	ds_read_b128 a[192:195], v7 offset:49408                   // 000000005834: DBFEC100 C0000007
	ds_read_b128 a[196:199], v7 offset:50432                   // 00000000583C: DBFEC500 C4000007
	v_mfma_f32_16x16x16_bf16 v[80:83], a[164:165], v[32:33], v[80:83]// 000000005844: D3E10050 0D4241A4
	v_mfma_f32_16x16x16_bf16 v[84:87], a[166:167], v[32:33], v[84:87]// 00000000584C: D3E10054 0D5241A6
	v_mfma_f32_16x16x16_bf16 v[88:91], a[168:169], v[32:33], v[88:91]// 000000005854: D3E10058 0D6241A8
	v_mfma_f32_16x16x16_bf16 v[92:95], a[170:171], v[32:33], v[92:95]// 00000000585C: D3E1005C 0D7241AA
	ds_read_b128 a[200:203], v7 offset:51456                   // 000000005864: DBFEC900 C8000007
	ds_read_b128 a[204:207], v7 offset:52480                   // 00000000586C: DBFECD00 CC000007
	v_mfma_f32_16x16x16_bf16 v[96:99], a[172:173], v[32:33], v[96:99]// 000000005874: D3E10060 0D8241AC
	v_mfma_f32_16x16x16_bf16 v[100:103], a[174:175], v[32:33], v[100:103]// 00000000587C: D3E10064 0D9241AE
	s_waitcnt lgkmcnt(4)                                       // 000000005884: BF8CC47F
	v_mfma_f32_16x16x16_bf16 v[104:107], a[176:177], v[32:33], v[104:107]// 000000005888: D3E10068 0DA241B0
	v_mfma_f32_16x16x16_bf16 v[108:111], a[178:179], v[32:33], v[108:111]// 000000005890: D3E1006C 0DB241B2
	v_mfma_f32_16x16x16_bf16 v[112:115], a[180:181], v[32:33], v[112:115]// 000000005898: D3E10070 0DC241B4
	s_waitcnt vmcnt(18) lgkmcnt(0)                             // 0000000058A0: BF8C4072
	s_barrier                                                  // 0000000058A4: BF8A0000
	v_mfma_f32_16x16x16_bf16 v[116:119], a[182:183], v[32:33], v[116:119]// 0000000058A8: D3E10074 0DD241B6
	ds_read_b64 v[20:21], v5                                   // 0000000058B0: D8EC0000 14000005
	ds_read_b64 v[22:23], v5 offset:4640                       // 0000000058B8: D8EC1220 16000005
	v_mfma_f32_16x16x16_bf16 v[120:123], a[184:185], v[32:33], v[120:123]// 0000000058C0: D3E10078 0DE241B8
	ds_read_b64 v[24:25], v5 offset:9280                       // 0000000058C8: D8EC2440 18000005
	ds_read_b64 v[26:27], v5 offset:13920                      // 0000000058D0: D8EC3660 1A000005
	v_mfma_f32_16x16x16_bf16 v[124:127], a[186:187], v[32:33], v[124:127]// 0000000058D8: D3E1007C 0DF241BA
	ds_read_b128 a[144:147], v4                                // 0000000058E0: DBFE0000 90000004
	v_mfma_f32_16x16x16_bf16 v[128:131], a[188:189], v[32:33], v[128:131]// 0000000058E8: D3E10080 0E0241BC
	ds_read_b128 a[148:151], v4 offset:64                      // 0000000058F0: DBFE0040 94000004
	v_mfma_f32_16x16x16_bf16 v[132:135], a[190:191], v[32:33], v[132:135]// 0000000058F8: D3E10084 0E1241BE
	ds_read_b128 a[152:155], v4 offset:256                     // 000000005900: DBFE0100 98000004
	v_mfma_f32_16x16x16_bf16 v[136:139], a[192:193], v[32:33], v[136:139]// 000000005908: D3E10088 0E2241C0
	ds_read_b128 a[156:159], v4 offset:320                     // 000000005910: DBFE0140 9C000004
	v_mfma_f32_16x16x16_bf16 v[140:143], a[194:195], v[32:33], v[140:143]// 000000005918: D3E1008C 0E3241C2
	ds_read_b128 a[160:163], v4 offset:512                     // 000000005920: DBFE0200 A0000004
	v_mfma_f32_16x16x16_bf16 v[144:147], a[196:197], v[32:33], v[144:147]// 000000005928: D3E10090 0E4241C4
	ds_read_b128 a[164:167], v4 offset:576                     // 000000005930: DBFE0240 A4000004
	v_mfma_f32_16x16x16_bf16 v[148:151], a[198:199], v[32:33], v[148:151]// 000000005938: D3E10094 0E5241C6
	ds_read_b128 a[168:171], v4 offset:768                     // 000000005940: DBFE0300 A8000004
	v_mfma_f32_16x16x16_bf16 v[152:155], a[200:201], v[32:33], v[152:155]// 000000005948: D3E10098 0E6241C8
	ds_read_b128 a[172:175], v4 offset:832                     // 000000005950: DBFE0340 AC000004
	v_mfma_f32_16x16x16_bf16 v[156:159], a[202:203], v[32:33], v[156:159]// 000000005958: D3E1009C 0E7241CA
	s_waitcnt lgkmcnt(8)                                       // 000000005960: BF8CC87F
	v_perm_b32 v168, v22, v20, s53                             // 000000005964: D1ED00A8 00D62916
	v_perm_b32 v170, v22, v20, s52                             // 00000000596C: D1ED00AA 00D22916
	v_perm_b32 v169, v26, v24, s53                             // 000000005974: D1ED00A9 00D6311A
	v_perm_b32 v171, v26, v24, s52                             // 00000000597C: D1ED00AB 00D2311A
	v_mfma_f32_16x16x16_bf16 v[160:163], a[204:205], v[32:33], v[160:163]// 000000005984: D3E100A0 0E8241CC
	ds_write_b128 v6, v[168:171] offset:37120                  // 00000000598C: D9BE9100 0000A806
	v_perm_b32 v168, v23, v21, s53                             // 000000005994: D1ED00A8 00D62B17
	v_perm_b32 v170, v23, v21, s52                             // 00000000599C: D1ED00AA 00D22B17
	v_perm_b32 v169, v27, v25, s53                             // 0000000059A4: D1ED00A9 00D6331B
	v_perm_b32 v171, v27, v25, s52                             // 0000000059AC: D1ED00AB 00D2331B
	v_mfma_f32_16x16x16_bf16 v[164:167], a[206:207], v[32:33], v[164:167]// 0000000059B4: D3E100A4 0E9241CE
	ds_write_b128 v6, v[168:171] offset:38144                  // 0000000059BC: D9BE9500 0000A806
	ds_read_b64 v[20:21], v5 offset:1024                       // 0000000059C4: D8EC0400 14000005
	ds_read_b64 v[22:23], v5 offset:5664                       // 0000000059CC: D8EC1620 16000005
	ds_read_b64 v[24:25], v5 offset:10304                      // 0000000059D4: D8EC2840 18000005
	ds_read_b64 v[26:27], v5 offset:14944                      // 0000000059DC: D8EC3A60 1A000005
	s_nop 0                                                    // 0000000059E4: BF800000
	s_addk_i32 s70, 0x1                                        // 0000000059E8: B7460001
	s_cmp_lt_i32 s70, s71                                      // 0000000059EC: BF044746
	s_cbranch_scc0 label_0932                                  // 0000000059F0: BF84FB35
	s_branch label_0935                                        // 0000000059F4: BF82FB37

00000000000059f8 <label_0DFE>:
	s_cmp_eq_i32 s48, 0                                        // 0000000059F8: BF008030
	s_cbranch_scc1 label_11FF                                  // 0000000059FC: BF8503FF

0000000000005a00 <label_0E00>:
	s_and_b32 s56, s71, 1                                      // 000000005A00: 86388147
	s_cmp_eq_i32 s56, 1                                        // 000000005A04: BF008138
	s_cbranch_scc1 label_1001                                  // 000000005A08: BF8501FE
	s_waitcnt lgkmcnt(4)                                       // 000000005A0C: BF8CC47F
	v_mfma_f32_16x16x16_bf16 v[32:35], a[144:145], a[0:1], 0   // 000000005A10: D3E10020 1A020190
	ds_read_b128 a[176:179], v4 offset:1024                    // 000000005A18: DBFE0400 B0000004
	ds_read_b128 a[180:183], v4 offset:1088                    // 000000005A20: DBFE0440 B4000004
	v_mfma_f32_16x16x16_bf16 v[32:35], a[146:147], a[2:3], v[32:35]// 000000005A28: D3E10020 1C820592
	v_mfma_f32_16x16x16_bf16 v[32:35], a[148:149], a[4:5], v[32:35]// 000000005A30: D3E10020 1C820994
	v_mfma_f32_16x16x16_bf16 v[32:35], a[150:151], a[6:7], v[32:35]// 000000005A38: D3E10020 1C820D96
	v_mfma_f32_16x16x16_bf16 v[32:35], a[152:153], a[8:9], v[32:35]// 000000005A40: D3E10020 1C821198
	ds_read_b128 a[184:187], v4 offset:1280                    // 000000005A48: DBFE0500 B8000004
	ds_read_b128 a[188:191], v4 offset:1344                    // 000000005A50: DBFE0540 BC000004
	v_mfma_f32_16x16x16_bf16 v[32:35], a[154:155], a[10:11], v[32:35]// 000000005A58: D3E10020 1C82159A
	v_mfma_f32_16x16x16_bf16 v[32:35], a[156:157], a[12:13], v[32:35]// 000000005A60: D3E10020 1C82199C
	v_mfma_f32_16x16x16_bf16 v[32:35], a[158:159], a[14:15], v[32:35]// 000000005A68: D3E10020 1C821D9E
	s_waitcnt lgkmcnt(4)                                       // 000000005A70: BF8CC47F
	v_mfma_f32_16x16x16_bf16 v[32:35], a[160:161], a[16:17], v[32:35]// 000000005A74: D3E10020 1C8221A0
	ds_read_b128 a[192:195], v4 offset:1536                    // 000000005A7C: DBFE0600 C0000004
	ds_read_b128 a[196:199], v4 offset:1600                    // 000000005A84: DBFE0640 C4000004
	v_mfma_f32_16x16x16_bf16 v[32:35], a[162:163], a[18:19], v[32:35]// 000000005A8C: D3E10020 1C8225A2
	v_mfma_f32_16x16x16_bf16 v[32:35], a[164:165], a[20:21], v[32:35]// 000000005A94: D3E10020 1C8229A4
	v_mfma_f32_16x16x16_bf16 v[32:35], a[166:167], a[22:23], v[32:35]// 000000005A9C: D3E10020 1C822DA6
	v_mfma_f32_16x16x16_bf16 v[32:35], a[168:169], a[24:25], v[32:35]// 000000005AA4: D3E10020 1C8231A8
	ds_read_b128 a[200:203], v4 offset:1792                    // 000000005AAC: DBFE0700 C8000004
	ds_read_b128 a[204:207], v4 offset:1856                    // 000000005AB4: DBFE0740 CC000004
	v_mfma_f32_16x16x16_bf16 v[32:35], a[170:171], a[26:27], v[32:35]// 000000005ABC: D3E10020 1C8235AA
	v_mfma_f32_16x16x16_bf16 v[32:35], a[172:173], a[28:29], v[32:35]// 000000005AC4: D3E10020 1C8239AC
	v_mfma_f32_16x16x16_bf16 v[32:35], a[174:175], a[30:31], v[32:35]// 000000005ACC: D3E10020 1C823DAE
	s_waitcnt lgkmcnt(4)                                       // 000000005AD4: BF8CC47F
	s_barrier                                                  // 000000005AD8: BF8A0000
	v_mfma_f32_16x16x16_bf16 v[32:35], a[176:177], a[32:33], v[32:35]// 000000005ADC: D3E10020 1C8241B0
	ds_read_b128 a[208:211], v4 offset:2048                    // 000000005AE4: DBFE0800 D0000004
	ds_read_b128 a[212:215], v4 offset:2112                    // 000000005AEC: DBFE0840 D4000004
	v_mfma_f32_16x16x16_bf16 v[32:35], a[178:179], a[34:35], v[32:35]// 000000005AF4: D3E10020 1C8245B2
	v_mfma_f32_16x16x16_bf16 v[32:35], a[180:181], a[36:37], v[32:35]// 000000005AFC: D3E10020 1C8249B4
	v_perm_b32 v168, v22, v20, s53                             // 000000005B04: D1ED00A8 00D62916
	v_perm_b32 v170, v22, v20, s52                             // 000000005B0C: D1ED00AA 00D22916
	v_perm_b32 v169, v26, v24, s53                             // 000000005B14: D1ED00A9 00D6311A
	v_perm_b32 v171, v26, v24, s52                             // 000000005B1C: D1ED00AB 00D2311A
	v_mfma_f32_16x16x16_bf16 v[32:35], a[182:183], a[38:39], v[32:35]// 000000005B24: D3E10020 1C824DB6
	v_mfma_f32_16x16x16_bf16 v[32:35], a[184:185], a[40:41], v[32:35]// 000000005B2C: D3E10020 1C8251B8
	ds_write_b128 v6, v[168:171] offset:45312                  // 000000005B34: D9BEB100 0000A806
	v_mfma_f32_16x16x16_bf16 v[32:35], a[186:187], a[42:43], v[32:35]// 000000005B3C: D3E10020 1C8255BA
	v_mfma_f32_16x16x16_bf16 v[32:35], a[188:189], a[44:45], v[32:35]// 000000005B44: D3E10020 1C8259BC
	v_perm_b32 v168, v23, v21, s53                             // 000000005B4C: D1ED00A8 00D62B17
	v_perm_b32 v170, v23, v21, s52                             // 000000005B54: D1ED00AA 00D22B17
	v_perm_b32 v169, v27, v25, s53                             // 000000005B5C: D1ED00A9 00D6331B
	v_perm_b32 v171, v27, v25, s52                             // 000000005B64: D1ED00AB 00D2331B
	v_mfma_f32_16x16x16_bf16 v[32:35], a[190:191], a[46:47], v[32:35]// 000000005B6C: D3E10020 1C825DBE
	s_waitcnt lgkmcnt(1)                                       // 000000005B74: BF8CC17F
	v_mfma_f32_16x16x16_bf16 v[32:35], a[192:193], a[48:49], v[32:35]// 000000005B78: D3E10020 1C8261C0
	ds_write_b128 v6, v[168:171] offset:46336                  // 000000005B80: D9BEB500 0000A806
	v_mfma_f32_16x16x16_bf16 v[32:35], a[194:195], a[50:51], v[32:35]// 000000005B88: D3E10020 1C8265C2
	v_mfma_f32_16x16x16_bf16 v[32:35], a[196:197], a[52:53], v[32:35]// 000000005B90: D3E10020 1C8269C4
	v_mfma_f32_16x16x16_bf16 v[32:35], a[198:199], a[54:55], v[32:35]// 000000005B98: D3E10020 1C826DC6
	v_mfma_f32_16x16x16_bf16 v[32:35], a[200:201], a[56:57], v[32:35]// 000000005BA0: D3E10020 1C8271C8
	v_mfma_f32_16x16x16_bf16 v[32:35], a[202:203], a[58:59], v[32:35]// 000000005BA8: D3E10020 1C8275CA
	v_mfma_f32_16x16x16_bf16 v[32:35], a[204:205], a[60:61], v[32:35]// 000000005BB0: D3E10020 1C8279CC
	v_mfma_f32_16x16x16_bf16 v[32:35], a[206:207], a[62:63], v[32:35]// 000000005BB8: D3E10020 1C827DCE
	v_mfma_f32_16x16x16_bf16 v[32:35], a[208:209], a[64:65], v[32:35]// 000000005BC0: D3E10020 1C8281D0
	v_mfma_f32_16x16x16_bf16 v[32:35], a[210:211], a[66:67], v[32:35]// 000000005BC8: D3E10020 1C8285D2
	v_mfma_f32_16x16x16_bf16 v[32:35], a[212:213], a[68:69], v[32:35]// 000000005BD0: D3E10020 1C8289D4
	v_mfma_f32_16x16x16_bf16 v[32:35], a[214:215], a[70:71], v[32:35]// 000000005BD8: D3E10020 1C828DD6
	s_cmp_le_i32 s83, s82                                      // 000000005BE0: BF055253
	s_cbranch_scc1 label_0E9E                                  // 000000005BE4: BF850024
	v_mov_b32_e32 v25, 0xff800000                              // 000000005BE8: 7E3202FF FF800000
	s_add_u32 s57, s82, 0                                      // 000000005BF0: 80398052
	v_mov_b32_e32 v24, s57                                     // 000000005BF4: 7E300239
	v_add_u32_e32 v24, s7, v24                                 // 000000005BF8: 68303007
	s_sub_u32 s56, s83, 15                                     // 000000005BFC: 80B88F53
	v_lshrrev_b32_e32 v20, 4, v0                               // 000000005C00: 20280084
	v_mul_i32_i24_e32 v20, 4, v20                              // 000000005C04: 0C282884
	v_add_u32_e32 v20, s56, v20                                // 000000005C08: 68282838
	v_add_u32_e32 v21, 1, v20                                  // 000000005C0C: 682A2881
	v_add_u32_e32 v22, 2, v20                                  // 000000005C10: 682C2882
	v_add_u32_e32 v23, 3, v20                                  // 000000005C14: 682E2883
	v_cmp_le_u32_e64 s[38:39], v20, v24                        // 000000005C18: D0CB0026 00023114
	v_add_u32_e32 v20, 64, v20                                 // 000000005C20: 682828C0
	s_nop 0                                                    // 000000005C24: BF800000
	v_cndmask_b32_e64 v32, v25, v32, s[38:39]                  // 000000005C28: D1000020 009A4119
	v_cmp_le_u32_e64 s[38:39], v21, v24                        // 000000005C30: D0CB0026 00023115
	v_add_u32_e32 v21, 64, v21                                 // 000000005C38: 682A2AC0
	s_nop 0                                                    // 000000005C3C: BF800000
	v_cndmask_b32_e64 v33, v25, v33, s[38:39]                  // 000000005C40: D1000021 009A4319
	v_cmp_le_u32_e64 s[38:39], v22, v24                        // 000000005C48: D0CB0026 00023116
	v_add_u32_e32 v22, 64, v22                                 // 000000005C50: 682C2CC0
	s_nop 0                                                    // 000000005C54: BF800000
	v_cndmask_b32_e64 v34, v25, v34, s[38:39]                  // 000000005C58: D1000022 009A4519
	v_cmp_le_u32_e64 s[38:39], v23, v24                        // 000000005C60: D0CB0026 00023117
	v_add_u32_e32 v23, 64, v23                                 // 000000005C68: 682E2EC0
	s_nop 0                                                    // 000000005C6C: BF800000
	v_cndmask_b32_e64 v35, v25, v35, s[38:39]                  // 000000005C70: D1000023 009A4719

0000000000005c78 <label_0E9E>:
	s_waitcnt lgkmcnt(0)                                       // 000000005C78: BF8CC07F
	s_barrier                                                  // 000000005C7C: BF8A0000
	v_mov_b32_e32 v25, 0xff800000                              // 000000005C80: 7E3202FF FF800000
	s_and_b32 s56, s48, 0xff                                   // 000000005C88: 8638FF30 000000FF
	v_mov_b32_e32 v24, s56                                     // 000000005C90: 7E300238
	v_lshrrev_b32_e32 v20, 4, v0                               // 000000005C94: 20280084
	v_mul_i32_i24_e32 v20, 4, v20                              // 000000005C98: 0C282884
	v_add_u32_e32 v21, 1, v20                                  // 000000005C9C: 682A2881
	v_add_u32_e32 v22, 2, v20                                  // 000000005CA0: 682C2882
	v_add_u32_e32 v23, 3, v20                                  // 000000005CA4: 682E2883
	v_cmp_lt_u32_e64 s[38:39], v20, v24                        // 000000005CA8: D0C90026 00023114
	v_add_u32_e32 v20, 64, v20                                 // 000000005CB0: 682828C0
	s_nop 0                                                    // 000000005CB4: BF800000
	v_cndmask_b32_e64 v32, v25, v32, s[38:39]                  // 000000005CB8: D1000020 009A4119
	v_cmp_lt_u32_e64 s[38:39], v21, v24                        // 000000005CC0: D0C90026 00023115
	v_add_u32_e32 v21, 64, v21                                 // 000000005CC8: 682A2AC0
	s_nop 0                                                    // 000000005CCC: BF800000
	v_cndmask_b32_e64 v33, v25, v33, s[38:39]                  // 000000005CD0: D1000021 009A4319
	v_cmp_lt_u32_e64 s[38:39], v22, v24                        // 000000005CD8: D0C90026 00023116
	v_add_u32_e32 v22, 64, v22                                 // 000000005CE0: 682C2CC0
	s_nop 0                                                    // 000000005CE4: BF800000
	v_cndmask_b32_e64 v34, v25, v34, s[38:39]                  // 000000005CE8: D1000022 009A4519
	v_cmp_lt_u32_e64 s[38:39], v23, v24                        // 000000005CF0: D0C90026 00023117
	v_add_u32_e32 v23, 64, v23                                 // 000000005CF8: 682E2EC0
	s_nop 0                                                    // 000000005CFC: BF800000
	v_cndmask_b32_e64 v35, v25, v35, s[38:39]                  // 000000005D00: D1000023 009A4719
	v_max3_f32 v24, v32, v33, v32                              // 000000005D08: D1D30018 04824320
	v_max3_f32 v24, v34, v35, v24                              // 000000005D10: D1D30018 04624722
	ds_write_b32 v3, v24 offset:53504                          // 000000005D18: D81AD100 00001803
	s_waitcnt lgkmcnt(0)                                       // 000000005D20: BF8CC07F
	ds_read_b32 v20, v2 offset:53504                           // 000000005D24: D86CD100 14000002
	ds_read_b32 v21, v2 offset:53568                           // 000000005D2C: D86CD140 15000002
	ds_read_b32 v22, v2 offset:53632                           // 000000005D34: D86CD180 16000002
	ds_read_b32 v23, v2 offset:53696                           // 000000005D3C: D86CD1C0 17000002
	s_waitcnt lgkmcnt(0)                                       // 000000005D44: BF8CC07F
	v_max3_f32 v24, v20, v21, v24                              // 000000005D48: D1D30018 04622B14
	v_max3_f32 v24, v22, v23, v24                              // 000000005D50: D1D30018 04622F16
	ds_read_b128 a[144:147], v7 offset:37120                   // 000000005D58: DBFE9100 90000007
	ds_read_b128 a[148:151], v7 offset:38144                   // 000000005D60: DBFE9500 94000007
	ds_read_b128 a[152:155], v7 offset:39168                   // 000000005D68: DBFE9900 98000007
	ds_read_b128 a[156:159], v7 offset:40192                   // 000000005D70: DBFE9D00 9C000007
	ds_read_b128 a[160:163], v7 offset:41216                   // 000000005D78: DBFEA100 A0000007
	ds_read_b128 a[164:167], v7 offset:42240                   // 000000005D80: DBFEA500 A4000007
	ds_read_b128 a[168:171], v7 offset:43264                   // 000000005D88: DBFEA900 A8000007
	ds_read_b128 a[172:175], v7 offset:44288                   // 000000005D90: DBFEAD00 AC000007
	v_mov_b32_e32 v25, 0xff7fffff                              // 000000005D98: 7E3202FF FF7FFFFF
	v_cmp_eq_u32_e64 s[38:39], v25, v12                        // 000000005DA0: D0CA0026 00021919
	v_max_f32_e32 v20, v24, v12                                // 000000005DA8: 16281918
	v_sub_f32_e32 v16, v12, v20                                // 000000005DAC: 0420290C
	v_cndmask_b32_e64 v16, v16, 0, s[38:39]                    // 000000005DB0: D1000010 00990110
	v_mov_b32_e32 v12, v20                                     // 000000005DB8: 7E180314
	v_mul_f32_e32 v21, s5, v20                                 // 000000005DBC: 0A2A2805
	v_mul_f32_e32 v16, s5, v16                                 // 000000005DC0: 0A202005
	v_exp_f32_e32 v16, v16                                     // 000000005DC4: 7E204110
	v_fma_f32 v32, v32, s5, -v21                               // 000000005DC8: D1CB0020 84540B20
	v_fma_f32 v33, v33, s5, -v21                               // 000000005DD0: D1CB0021 84540B21
	v_fma_f32 v34, v34, s5, -v21                               // 000000005DD8: D1CB0022 84540B22
	v_fma_f32 v35, v35, s5, -v21                               // 000000005DE0: D1CB0023 84540B23
	v_exp_f32_e32 v32, v32                                     // 000000005DE8: 7E404120
	v_exp_f32_e32 v33, v33                                     // 000000005DEC: 7E424121
	v_exp_f32_e32 v34, v34                                     // 000000005DF0: 7E444122
	v_exp_f32_e32 v35, v35                                     // 000000005DF4: 7E464123
	v_mul_f32_e32 v14, v16, v14                                // 000000005DF8: 0A1C1D10
	v_mov_b32_e32 v22, v32                                     // 000000005DFC: 7E2C0320
	v_add_f32_e32 v22, v33, v22                                // 000000005E00: 022C2D21
	v_add_f32_e32 v22, v34, v22                                // 000000005E04: 022C2D22
	v_add_f32_e32 v22, v35, v22                                // 000000005E08: 022C2D23
	v_add_f32_e32 v14, v22, v14                                // 000000005E0C: 021C1D16
	v_mov_b32_e32 v29, 0xffff0000                              // 000000005E10: 7E3A02FF FFFF0000
	v_mov_b32_e32 v30, 0x7fff0000                              // 000000005E18: 7E3C02FF 7FFF0000
	v_mov_b32_e32 v31, 0x7fff                                  // 000000005E20: 7E3E02FF 00007FFF
	v_cmp_u_f32_e64 s[38:39], v32, v32                         // 000000005E28: D0480026 00024120
	v_add3_u32 v28, v32, v31, 1                                // 000000005E30: D1FF001C 02063F20
	v_cndmask_b32_e64 v20, v28, v30, s[38:39]                  // 000000005E38: D1000014 009A3D1C
	v_cmp_u_f32_e64 s[38:39], v33, v33                         // 000000005E40: D0480026 00024321
	v_add3_u32 v28, v33, v31, 1                                // 000000005E48: D1FF001C 02063F21
	v_cndmask_b32_e64 v21, v28, v30, s[38:39]                  // 000000005E50: D1000015 009A3D1C
	v_perm_b32 v32, v21, v20, s52                              // 000000005E58: D1ED0020 00D22915
	v_cmp_u_f32_e64 s[38:39], v34, v34                         // 000000005E60: D0480026 00024522
	v_add3_u32 v28, v34, v31, 1                                // 000000005E68: D1FF001C 02063F22
	v_cndmask_b32_e64 v20, v28, v30, s[38:39]                  // 000000005E70: D1000014 009A3D1C
	v_cmp_u_f32_e64 s[38:39], v35, v35                         // 000000005E78: D0480026 00024723
	v_add3_u32 v28, v35, v31, 1                                // 000000005E80: D1FF001C 02063F23
	v_cndmask_b32_e64 v21, v28, v30, s[38:39]                  // 000000005E88: D1000015 009A3D1C
	v_perm_b32 v33, v21, v20, s52                              // 000000005E90: D1ED0021 00D22915
	s_nop 2                                                    // 000000005E98: BF800002
	s_add_u32 s83, s84, s83                                    // 000000005E9C: 80535354
	s_nop 0                                                    // 000000005EA0: BF800000
	v_mov_b32_e32 v22, v16                                     // 000000005EA4: 7E2C0310
	v_mov_b32_e32 v23, v16                                     // 000000005EA8: 7E2E0310
	v_pk_mul_f32 v[40:41], v[22:23], v[40:41]                  // 000000005EAC: D3B14028 18025116
	v_pk_mul_f32 v[42:43], v[22:23], v[42:43]                  // 000000005EB4: D3B1402A 18025516
	v_pk_mul_f32 v[44:45], v[22:23], v[44:45]                  // 000000005EBC: D3B1402C 18025916
	v_pk_mul_f32 v[46:47], v[22:23], v[46:47]                  // 000000005EC4: D3B1402E 18025D16
	v_pk_mul_f32 v[48:49], v[22:23], v[48:49]                  // 000000005ECC: D3B14030 18026116
	v_pk_mul_f32 v[50:51], v[22:23], v[50:51]                  // 000000005ED4: D3B14032 18026516
	v_pk_mul_f32 v[52:53], v[22:23], v[52:53]                  // 000000005EDC: D3B14034 18026916
	v_pk_mul_f32 v[54:55], v[22:23], v[54:55]                  // 000000005EE4: D3B14036 18026D16
	v_pk_mul_f32 v[56:57], v[22:23], v[56:57]                  // 000000005EEC: D3B14038 18027116
	v_pk_mul_f32 v[58:59], v[22:23], v[58:59]                  // 000000005EF4: D3B1403A 18027516
	v_pk_mul_f32 v[60:61], v[22:23], v[60:61]                  // 000000005EFC: D3B1403C 18027916
	v_pk_mul_f32 v[62:63], v[22:23], v[62:63]                  // 000000005F04: D3B1403E 18027D16
	v_pk_mul_f32 v[64:65], v[22:23], v[64:65]                  // 000000005F0C: D3B14040 18028116
	v_pk_mul_f32 v[66:67], v[22:23], v[66:67]                  // 000000005F14: D3B14042 18028516
	v_pk_mul_f32 v[68:69], v[22:23], v[68:69]                  // 000000005F1C: D3B14044 18028916
	v_pk_mul_f32 v[70:71], v[22:23], v[70:71]                  // 000000005F24: D3B14046 18028D16
	v_pk_mul_f32 v[72:73], v[22:23], v[72:73]                  // 000000005F2C: D3B14048 18029116
	v_pk_mul_f32 v[74:75], v[22:23], v[74:75]                  // 000000005F34: D3B1404A 18029516
	v_pk_mul_f32 v[76:77], v[22:23], v[76:77]                  // 000000005F3C: D3B1404C 18029916
	v_pk_mul_f32 v[78:79], v[22:23], v[78:79]                  // 000000005F44: D3B1404E 18029D16
	v_pk_mul_f32 v[80:81], v[22:23], v[80:81]                  // 000000005F4C: D3B14050 1802A116
	v_pk_mul_f32 v[82:83], v[22:23], v[82:83]                  // 000000005F54: D3B14052 1802A516
	v_pk_mul_f32 v[84:85], v[22:23], v[84:85]                  // 000000005F5C: D3B14054 1802A916
	v_pk_mul_f32 v[86:87], v[22:23], v[86:87]                  // 000000005F64: D3B14056 1802AD16
	v_pk_mul_f32 v[88:89], v[22:23], v[88:89]                  // 000000005F6C: D3B14058 1802B116
	v_pk_mul_f32 v[90:91], v[22:23], v[90:91]                  // 000000005F74: D3B1405A 1802B516
	v_pk_mul_f32 v[92:93], v[22:23], v[92:93]                  // 000000005F7C: D3B1405C 1802B916
	v_pk_mul_f32 v[94:95], v[22:23], v[94:95]                  // 000000005F84: D3B1405E 1802BD16
	v_pk_mul_f32 v[96:97], v[22:23], v[96:97]                  // 000000005F8C: D3B14060 1802C116
	v_pk_mul_f32 v[98:99], v[22:23], v[98:99]                  // 000000005F94: D3B14062 1802C516
	v_pk_mul_f32 v[100:101], v[22:23], v[100:101]              // 000000005F9C: D3B14064 1802C916
	v_pk_mul_f32 v[102:103], v[22:23], v[102:103]              // 000000005FA4: D3B14066 1802CD16
	v_pk_mul_f32 v[104:105], v[22:23], v[104:105]              // 000000005FAC: D3B14068 1802D116
	v_pk_mul_f32 v[106:107], v[22:23], v[106:107]              // 000000005FB4: D3B1406A 1802D516
	v_pk_mul_f32 v[108:109], v[22:23], v[108:109]              // 000000005FBC: D3B1406C 1802D916
	v_pk_mul_f32 v[110:111], v[22:23], v[110:111]              // 000000005FC4: D3B1406E 1802DD16
	v_pk_mul_f32 v[112:113], v[22:23], v[112:113]              // 000000005FCC: D3B14070 1802E116
	v_pk_mul_f32 v[114:115], v[22:23], v[114:115]              // 000000005FD4: D3B14072 1802E516
	v_pk_mul_f32 v[116:117], v[22:23], v[116:117]              // 000000005FDC: D3B14074 1802E916
	v_pk_mul_f32 v[118:119], v[22:23], v[118:119]              // 000000005FE4: D3B14076 1802ED16
	v_pk_mul_f32 v[120:121], v[22:23], v[120:121]              // 000000005FEC: D3B14078 1802F116
	v_pk_mul_f32 v[122:123], v[22:23], v[122:123]              // 000000005FF4: D3B1407A 1802F516
	v_pk_mul_f32 v[124:125], v[22:23], v[124:125]              // 000000005FFC: D3B1407C 1802F916
	v_pk_mul_f32 v[126:127], v[22:23], v[126:127]              // 000000006004: D3B1407E 1802FD16
	v_pk_mul_f32 v[128:129], v[22:23], v[128:129]              // 00000000600C: D3B14080 18030116
	v_pk_mul_f32 v[130:131], v[22:23], v[130:131]              // 000000006014: D3B14082 18030516
	v_pk_mul_f32 v[132:133], v[22:23], v[132:133]              // 00000000601C: D3B14084 18030916
	v_pk_mul_f32 v[134:135], v[22:23], v[134:135]              // 000000006024: D3B14086 18030D16
	v_pk_mul_f32 v[136:137], v[22:23], v[136:137]              // 00000000602C: D3B14088 18031116
	v_pk_mul_f32 v[138:139], v[22:23], v[138:139]              // 000000006034: D3B1408A 18031516
	v_pk_mul_f32 v[140:141], v[22:23], v[140:141]              // 00000000603C: D3B1408C 18031916
	v_pk_mul_f32 v[142:143], v[22:23], v[142:143]              // 000000006044: D3B1408E 18031D16
	v_pk_mul_f32 v[144:145], v[22:23], v[144:145]              // 00000000604C: D3B14090 18032116
	v_pk_mul_f32 v[146:147], v[22:23], v[146:147]              // 000000006054: D3B14092 18032516
	v_pk_mul_f32 v[148:149], v[22:23], v[148:149]              // 00000000605C: D3B14094 18032916
	v_pk_mul_f32 v[150:151], v[22:23], v[150:151]              // 000000006064: D3B14096 18032D16
	v_pk_mul_f32 v[152:153], v[22:23], v[152:153]              // 00000000606C: D3B14098 18033116
	v_pk_mul_f32 v[154:155], v[22:23], v[154:155]              // 000000006074: D3B1409A 18033516
	v_pk_mul_f32 v[156:157], v[22:23], v[156:157]              // 00000000607C: D3B1409C 18033916
	v_pk_mul_f32 v[158:159], v[22:23], v[158:159]              // 000000006084: D3B1409E 18033D16
	v_pk_mul_f32 v[160:161], v[22:23], v[160:161]              // 00000000608C: D3B140A0 18034116
	v_pk_mul_f32 v[162:163], v[22:23], v[162:163]              // 000000006094: D3B140A2 18034516
	v_pk_mul_f32 v[164:165], v[22:23], v[164:165]              // 00000000609C: D3B140A4 18034916
	v_pk_mul_f32 v[166:167], v[22:23], v[166:167]              // 0000000060A4: D3B140A6 18034D16
	s_waitcnt lgkmcnt(0)                                       // 0000000060AC: BF8CC07F
	v_mfma_f32_16x16x16_bf16 v[40:43], a[144:145], v[32:33], v[40:43]// 0000000060B0: D3E10028 0CA24190
	ds_read_b128 a[176:179], v7 offset:45312                   // 0000000060B8: DBFEB100 B0000007
	ds_read_b128 a[180:183], v7 offset:46336                   // 0000000060C0: DBFEB500 B4000007
	v_mfma_f32_16x16x16_bf16 v[44:47], a[146:147], v[32:33], v[44:47]// 0000000060C8: D3E1002C 0CB24192
	v_mfma_f32_16x16x16_bf16 v[48:51], a[148:149], v[32:33], v[48:51]// 0000000060D0: D3E10030 0CC24194
	v_mfma_f32_16x16x16_bf16 v[52:55], a[150:151], v[32:33], v[52:55]// 0000000060D8: D3E10034 0CD24196
	v_mfma_f32_16x16x16_bf16 v[56:59], a[152:153], v[32:33], v[56:59]// 0000000060E0: D3E10038 0CE24198
	ds_read_b128 a[184:187], v7 offset:47360                   // 0000000060E8: DBFEB900 B8000007
	ds_read_b128 a[188:191], v7 offset:48384                   // 0000000060F0: DBFEBD00 BC000007
	v_mfma_f32_16x16x16_bf16 v[60:63], a[154:155], v[32:33], v[60:63]// 0000000060F8: D3E1003C 0CF2419A
	v_mfma_f32_16x16x16_bf16 v[64:67], a[156:157], v[32:33], v[64:67]// 000000006100: D3E10040 0D02419C
	v_mfma_f32_16x16x16_bf16 v[68:71], a[158:159], v[32:33], v[68:71]// 000000006108: D3E10044 0D12419E
	v_mfma_f32_16x16x16_bf16 v[72:75], a[160:161], v[32:33], v[72:75]// 000000006110: D3E10048 0D2241A0
	ds_read_b128 a[192:195], v7 offset:49408                   // 000000006118: DBFEC100 C0000007
	ds_read_b128 a[196:199], v7 offset:50432                   // 000000006120: DBFEC500 C4000007
	v_mfma_f32_16x16x16_bf16 v[76:79], a[162:163], v[32:33], v[76:79]// 000000006128: D3E1004C 0D3241A2
	v_mfma_f32_16x16x16_bf16 v[80:83], a[164:165], v[32:33], v[80:83]// 000000006130: D3E10050 0D4241A4
	v_mfma_f32_16x16x16_bf16 v[84:87], a[166:167], v[32:33], v[84:87]// 000000006138: D3E10054 0D5241A6
	v_mfma_f32_16x16x16_bf16 v[88:91], a[168:169], v[32:33], v[88:91]// 000000006140: D3E10058 0D6241A8
	ds_read_b128 a[200:203], v7 offset:51456                   // 000000006148: DBFEC900 C8000007
	ds_read_b128 a[204:207], v7 offset:52480                   // 000000006150: DBFECD00 CC000007
	v_mfma_f32_16x16x16_bf16 v[92:95], a[170:171], v[32:33], v[92:95]// 000000006158: D3E1005C 0D7241AA
	v_mfma_f32_16x16x16_bf16 v[96:99], a[172:173], v[32:33], v[96:99]// 000000006160: D3E10060 0D8241AC
	v_mfma_f32_16x16x16_bf16 v[100:103], a[174:175], v[32:33], v[100:103]// 000000006168: D3E10064 0D9241AE
	s_waitcnt lgkmcnt(4)                                       // 000000006170: BF8CC47F
	v_mfma_f32_16x16x16_bf16 v[104:107], a[176:177], v[32:33], v[104:107]// 000000006174: D3E10068 0DA241B0
	v_mfma_f32_16x16x16_bf16 v[108:111], a[178:179], v[32:33], v[108:111]// 00000000617C: D3E1006C 0DB241B2
	v_mfma_f32_16x16x16_bf16 v[112:115], a[180:181], v[32:33], v[112:115]// 000000006184: D3E10070 0DC241B4
	s_waitcnt vmcnt(18) lgkmcnt(0)                             // 00000000618C: BF8C4072
	s_barrier                                                  // 000000006190: BF8A0000
	v_mfma_f32_16x16x16_bf16 v[116:119], a[182:183], v[32:33], v[116:119]// 000000006194: D3E10074 0DD241B6
	v_mfma_f32_16x16x16_bf16 v[120:123], a[184:185], v[32:33], v[120:123]// 00000000619C: D3E10078 0DE241B8
	v_mfma_f32_16x16x16_bf16 v[124:127], a[186:187], v[32:33], v[124:127]// 0000000061A4: D3E1007C 0DF241BA
	v_mfma_f32_16x16x16_bf16 v[128:131], a[188:189], v[32:33], v[128:131]// 0000000061AC: D3E10080 0E0241BC
	v_mfma_f32_16x16x16_bf16 v[132:135], a[190:191], v[32:33], v[132:135]// 0000000061B4: D3E10084 0E1241BE
	v_mfma_f32_16x16x16_bf16 v[136:139], a[192:193], v[32:33], v[136:139]// 0000000061BC: D3E10088 0E2241C0
	v_mfma_f32_16x16x16_bf16 v[140:143], a[194:195], v[32:33], v[140:143]// 0000000061C4: D3E1008C 0E3241C2
	v_mfma_f32_16x16x16_bf16 v[144:147], a[196:197], v[32:33], v[144:147]// 0000000061CC: D3E10090 0E4241C4
	v_mfma_f32_16x16x16_bf16 v[148:151], a[198:199], v[32:33], v[148:151]// 0000000061D4: D3E10094 0E5241C6
	v_mfma_f32_16x16x16_bf16 v[152:155], a[200:201], v[32:33], v[152:155]// 0000000061DC: D3E10098 0E6241C8
	v_mfma_f32_16x16x16_bf16 v[156:159], a[202:203], v[32:33], v[156:159]// 0000000061E4: D3E1009C 0E7241CA
	v_mfma_f32_16x16x16_bf16 v[160:163], a[204:205], v[32:33], v[160:163]// 0000000061EC: D3E100A0 0E8241CC
	v_mfma_f32_16x16x16_bf16 v[164:167], a[206:207], v[32:33], v[164:167]// 0000000061F4: D3E100A4 0E9241CE
	s_nop 8                                                    // 0000000061FC: BF800008
	s_branch label_11FF                                        // 000000006200: BF8201FE

0000000000006204 <label_1001>:
	s_waitcnt lgkmcnt(4)                                       // 000000006204: BF8CC47F
	v_mfma_f32_16x16x16_bf16 v[32:35], a[144:145], a[0:1], 0   // 000000006208: D3E10020 1A020190
	ds_read_b128 a[176:179], v4 offset:19584                   // 000000006210: DBFE4C80 B0000004
	ds_read_b128 a[180:183], v4 offset:19648                   // 000000006218: DBFE4CC0 B4000004
	v_mfma_f32_16x16x16_bf16 v[32:35], a[146:147], a[2:3], v[32:35]// 000000006220: D3E10020 1C820592
	v_mfma_f32_16x16x16_bf16 v[32:35], a[148:149], a[4:5], v[32:35]// 000000006228: D3E10020 1C820994
	v_mfma_f32_16x16x16_bf16 v[32:35], a[150:151], a[6:7], v[32:35]// 000000006230: D3E10020 1C820D96
	v_mfma_f32_16x16x16_bf16 v[32:35], a[152:153], a[8:9], v[32:35]// 000000006238: D3E10020 1C821198
	ds_read_b128 a[184:187], v4 offset:19840                   // 000000006240: DBFE4D80 B8000004
	ds_read_b128 a[188:191], v4 offset:19904                   // 000000006248: DBFE4DC0 BC000004
	v_mfma_f32_16x16x16_bf16 v[32:35], a[154:155], a[10:11], v[32:35]// 000000006250: D3E10020 1C82159A
	v_mfma_f32_16x16x16_bf16 v[32:35], a[156:157], a[12:13], v[32:35]// 000000006258: D3E10020 1C82199C
	v_mfma_f32_16x16x16_bf16 v[32:35], a[158:159], a[14:15], v[32:35]// 000000006260: D3E10020 1C821D9E
	s_waitcnt lgkmcnt(4)                                       // 000000006268: BF8CC47F
	v_mfma_f32_16x16x16_bf16 v[32:35], a[160:161], a[16:17], v[32:35]// 00000000626C: D3E10020 1C8221A0
	ds_read_b128 a[192:195], v4 offset:20096                   // 000000006274: DBFE4E80 C0000004
	ds_read_b128 a[196:199], v4 offset:20160                   // 00000000627C: DBFE4EC0 C4000004
	v_mfma_f32_16x16x16_bf16 v[32:35], a[162:163], a[18:19], v[32:35]// 000000006284: D3E10020 1C8225A2
	v_mfma_f32_16x16x16_bf16 v[32:35], a[164:165], a[20:21], v[32:35]// 00000000628C: D3E10020 1C8229A4
	v_mfma_f32_16x16x16_bf16 v[32:35], a[166:167], a[22:23], v[32:35]// 000000006294: D3E10020 1C822DA6
	v_mfma_f32_16x16x16_bf16 v[32:35], a[168:169], a[24:25], v[32:35]// 00000000629C: D3E10020 1C8231A8
	ds_read_b128 a[200:203], v4 offset:20352                   // 0000000062A4: DBFE4F80 C8000004
	ds_read_b128 a[204:207], v4 offset:20416                   // 0000000062AC: DBFE4FC0 CC000004
	v_mfma_f32_16x16x16_bf16 v[32:35], a[170:171], a[26:27], v[32:35]// 0000000062B4: D3E10020 1C8235AA
	v_mfma_f32_16x16x16_bf16 v[32:35], a[172:173], a[28:29], v[32:35]// 0000000062BC: D3E10020 1C8239AC
	v_mfma_f32_16x16x16_bf16 v[32:35], a[174:175], a[30:31], v[32:35]// 0000000062C4: D3E10020 1C823DAE
	s_waitcnt lgkmcnt(4)                                       // 0000000062CC: BF8CC47F
	s_barrier                                                  // 0000000062D0: BF8A0000
	v_mfma_f32_16x16x16_bf16 v[32:35], a[176:177], a[32:33], v[32:35]// 0000000062D4: D3E10020 1C8241B0
	ds_read_b128 a[208:211], v4 offset:20608                   // 0000000062DC: DBFE5080 D0000004
	ds_read_b128 a[212:215], v4 offset:20672                   // 0000000062E4: DBFE50C0 D4000004
	v_mfma_f32_16x16x16_bf16 v[32:35], a[178:179], a[34:35], v[32:35]// 0000000062EC: D3E10020 1C8245B2
	v_mfma_f32_16x16x16_bf16 v[32:35], a[180:181], a[36:37], v[32:35]// 0000000062F4: D3E10020 1C8249B4
	v_perm_b32 v168, v22, v20, s53                             // 0000000062FC: D1ED00A8 00D62916
	v_perm_b32 v170, v22, v20, s52                             // 000000006304: D1ED00AA 00D22916
	v_perm_b32 v169, v26, v24, s53                             // 00000000630C: D1ED00A9 00D6311A
	v_perm_b32 v171, v26, v24, s52                             // 000000006314: D1ED00AB 00D2311A
	v_mfma_f32_16x16x16_bf16 v[32:35], a[182:183], a[38:39], v[32:35]// 00000000631C: D3E10020 1C824DB6
	v_mfma_f32_16x16x16_bf16 v[32:35], a[184:185], a[40:41], v[32:35]// 000000006324: D3E10020 1C8251B8
	ds_write_b128 v6, v[168:171] offset:45312                  // 00000000632C: D9BEB100 0000A806
	v_mfma_f32_16x16x16_bf16 v[32:35], a[186:187], a[42:43], v[32:35]// 000000006334: D3E10020 1C8255BA
	v_mfma_f32_16x16x16_bf16 v[32:35], a[188:189], a[44:45], v[32:35]// 00000000633C: D3E10020 1C8259BC
	v_perm_b32 v168, v23, v21, s53                             // 000000006344: D1ED00A8 00D62B17
	v_perm_b32 v170, v23, v21, s52                             // 00000000634C: D1ED00AA 00D22B17
	v_perm_b32 v169, v27, v25, s53                             // 000000006354: D1ED00A9 00D6331B
	v_perm_b32 v171, v27, v25, s52                             // 00000000635C: D1ED00AB 00D2331B
	v_mfma_f32_16x16x16_bf16 v[32:35], a[190:191], a[46:47], v[32:35]// 000000006364: D3E10020 1C825DBE
	s_waitcnt lgkmcnt(1)                                       // 00000000636C: BF8CC17F
	v_mfma_f32_16x16x16_bf16 v[32:35], a[192:193], a[48:49], v[32:35]// 000000006370: D3E10020 1C8261C0
	ds_write_b128 v6, v[168:171] offset:46336                  // 000000006378: D9BEB500 0000A806
	v_mfma_f32_16x16x16_bf16 v[32:35], a[194:195], a[50:51], v[32:35]// 000000006380: D3E10020 1C8265C2
	v_mfma_f32_16x16x16_bf16 v[32:35], a[196:197], a[52:53], v[32:35]// 000000006388: D3E10020 1C8269C4
	v_mfma_f32_16x16x16_bf16 v[32:35], a[198:199], a[54:55], v[32:35]// 000000006390: D3E10020 1C826DC6
	v_mfma_f32_16x16x16_bf16 v[32:35], a[200:201], a[56:57], v[32:35]// 000000006398: D3E10020 1C8271C8
	v_mfma_f32_16x16x16_bf16 v[32:35], a[202:203], a[58:59], v[32:35]// 0000000063A0: D3E10020 1C8275CA
	v_mfma_f32_16x16x16_bf16 v[32:35], a[204:205], a[60:61], v[32:35]// 0000000063A8: D3E10020 1C8279CC
	v_mfma_f32_16x16x16_bf16 v[32:35], a[206:207], a[62:63], v[32:35]// 0000000063B0: D3E10020 1C827DCE
	v_mfma_f32_16x16x16_bf16 v[32:35], a[208:209], a[64:65], v[32:35]// 0000000063B8: D3E10020 1C8281D0
	v_mfma_f32_16x16x16_bf16 v[32:35], a[210:211], a[66:67], v[32:35]// 0000000063C0: D3E10020 1C8285D2
	v_mfma_f32_16x16x16_bf16 v[32:35], a[212:213], a[68:69], v[32:35]// 0000000063C8: D3E10020 1C8289D4
	v_mfma_f32_16x16x16_bf16 v[32:35], a[214:215], a[70:71], v[32:35]// 0000000063D0: D3E10020 1C828DD6
	s_cmp_le_i32 s83, s82                                      // 0000000063D8: BF055253
	s_cbranch_scc1 label_109C                                  // 0000000063DC: BF850024
	v_mov_b32_e32 v25, 0xff800000                              // 0000000063E0: 7E3202FF FF800000
	s_add_u32 s57, s82, 0                                      // 0000000063E8: 80398052
	v_mov_b32_e32 v24, s57                                     // 0000000063EC: 7E300239
	v_add_u32_e32 v24, s7, v24                                 // 0000000063F0: 68303007
	s_sub_u32 s56, s83, 15                                     // 0000000063F4: 80B88F53
	v_lshrrev_b32_e32 v20, 4, v0                               // 0000000063F8: 20280084
	v_mul_i32_i24_e32 v20, 4, v20                              // 0000000063FC: 0C282884
	v_add_u32_e32 v20, s56, v20                                // 000000006400: 68282838
	v_add_u32_e32 v21, 1, v20                                  // 000000006404: 682A2881
	v_add_u32_e32 v22, 2, v20                                  // 000000006408: 682C2882
	v_add_u32_e32 v23, 3, v20                                  // 00000000640C: 682E2883
	v_cmp_le_u32_e64 s[38:39], v20, v24                        // 000000006410: D0CB0026 00023114
	v_add_u32_e32 v20, 64, v20                                 // 000000006418: 682828C0
	s_nop 0                                                    // 00000000641C: BF800000
	v_cndmask_b32_e64 v32, v25, v32, s[38:39]                  // 000000006420: D1000020 009A4119
	v_cmp_le_u32_e64 s[38:39], v21, v24                        // 000000006428: D0CB0026 00023115
	v_add_u32_e32 v21, 64, v21                                 // 000000006430: 682A2AC0
	s_nop 0                                                    // 000000006434: BF800000
	v_cndmask_b32_e64 v33, v25, v33, s[38:39]                  // 000000006438: D1000021 009A4319
	v_cmp_le_u32_e64 s[38:39], v22, v24                        // 000000006440: D0CB0026 00023116
	v_add_u32_e32 v22, 64, v22                                 // 000000006448: 682C2CC0
	s_nop 0                                                    // 00000000644C: BF800000
	v_cndmask_b32_e64 v34, v25, v34, s[38:39]                  // 000000006450: D1000022 009A4519
	v_cmp_le_u32_e64 s[38:39], v23, v24                        // 000000006458: D0CB0026 00023117
	v_add_u32_e32 v23, 64, v23                                 // 000000006460: 682E2EC0
	s_nop 0                                                    // 000000006464: BF800000
	v_cndmask_b32_e64 v35, v25, v35, s[38:39]                  // 000000006468: D1000023 009A4719

0000000000006470 <label_109C>:
	s_waitcnt lgkmcnt(0)                                       // 000000006470: BF8CC07F
	s_barrier                                                  // 000000006474: BF8A0000
	v_mov_b32_e32 v25, 0xff800000                              // 000000006478: 7E3202FF FF800000
	s_and_b32 s56, s48, 0xff                                   // 000000006480: 8638FF30 000000FF
	v_mov_b32_e32 v24, s56                                     // 000000006488: 7E300238
	v_lshrrev_b32_e32 v20, 4, v0                               // 00000000648C: 20280084
	v_mul_i32_i24_e32 v20, 4, v20                              // 000000006490: 0C282884
	v_add_u32_e32 v21, 1, v20                                  // 000000006494: 682A2881
	v_add_u32_e32 v22, 2, v20                                  // 000000006498: 682C2882
	v_add_u32_e32 v23, 3, v20                                  // 00000000649C: 682E2883
	v_cmp_lt_u32_e64 s[38:39], v20, v24                        // 0000000064A0: D0C90026 00023114
	v_add_u32_e32 v20, 64, v20                                 // 0000000064A8: 682828C0
	s_nop 0                                                    // 0000000064AC: BF800000
	v_cndmask_b32_e64 v32, v25, v32, s[38:39]                  // 0000000064B0: D1000020 009A4119
	v_cmp_lt_u32_e64 s[38:39], v21, v24                        // 0000000064B8: D0C90026 00023115
	v_add_u32_e32 v21, 64, v21                                 // 0000000064C0: 682A2AC0
	s_nop 0                                                    // 0000000064C4: BF800000
	v_cndmask_b32_e64 v33, v25, v33, s[38:39]                  // 0000000064C8: D1000021 009A4319
	v_cmp_lt_u32_e64 s[38:39], v22, v24                        // 0000000064D0: D0C90026 00023116
	v_add_u32_e32 v22, 64, v22                                 // 0000000064D8: 682C2CC0
	s_nop 0                                                    // 0000000064DC: BF800000
	v_cndmask_b32_e64 v34, v25, v34, s[38:39]                  // 0000000064E0: D1000022 009A4519
	v_cmp_lt_u32_e64 s[38:39], v23, v24                        // 0000000064E8: D0C90026 00023117
	v_add_u32_e32 v23, 64, v23                                 // 0000000064F0: 682E2EC0
	s_nop 0                                                    // 0000000064F4: BF800000
	v_cndmask_b32_e64 v35, v25, v35, s[38:39]                  // 0000000064F8: D1000023 009A4719
	v_max3_f32 v24, v32, v33, v32                              // 000000006500: D1D30018 04824320
	v_max3_f32 v24, v34, v35, v24                              // 000000006508: D1D30018 04624722
	ds_write_b32 v3, v24 offset:53504                          // 000000006510: D81AD100 00001803
	s_waitcnt lgkmcnt(0)                                       // 000000006518: BF8CC07F
	ds_read_b32 v20, v2 offset:53504                           // 00000000651C: D86CD100 14000002
	ds_read_b32 v21, v2 offset:53568                           // 000000006524: D86CD140 15000002
	ds_read_b32 v22, v2 offset:53632                           // 00000000652C: D86CD180 16000002
	ds_read_b32 v23, v2 offset:53696                           // 000000006534: D86CD1C0 17000002
	s_waitcnt lgkmcnt(0)                                       // 00000000653C: BF8CC07F
	v_max3_f32 v24, v20, v21, v24                              // 000000006540: D1D30018 04622B14
	v_max3_f32 v24, v22, v23, v24                              // 000000006548: D1D30018 04622F16
	ds_read_b128 a[144:147], v7 offset:37120                   // 000000006550: DBFE9100 90000007
	ds_read_b128 a[148:151], v7 offset:38144                   // 000000006558: DBFE9500 94000007
	ds_read_b128 a[152:155], v7 offset:39168                   // 000000006560: DBFE9900 98000007
	ds_read_b128 a[156:159], v7 offset:40192                   // 000000006568: DBFE9D00 9C000007
	ds_read_b128 a[160:163], v7 offset:41216                   // 000000006570: DBFEA100 A0000007
	ds_read_b128 a[164:167], v7 offset:42240                   // 000000006578: DBFEA500 A4000007
	ds_read_b128 a[168:171], v7 offset:43264                   // 000000006580: DBFEA900 A8000007
	ds_read_b128 a[172:175], v7 offset:44288                   // 000000006588: DBFEAD00 AC000007
	v_mov_b32_e32 v25, 0xff7fffff                              // 000000006590: 7E3202FF FF7FFFFF
	v_cmp_eq_u32_e64 s[38:39], v25, v12                        // 000000006598: D0CA0026 00021919
	v_max_f32_e32 v20, v24, v12                                // 0000000065A0: 16281918
	v_sub_f32_e32 v16, v12, v20                                // 0000000065A4: 0420290C
	v_cndmask_b32_e64 v16, v16, 0, s[38:39]                    // 0000000065A8: D1000010 00990110
	v_mov_b32_e32 v12, v20                                     // 0000000065B0: 7E180314
	v_mul_f32_e32 v21, s5, v20                                 // 0000000065B4: 0A2A2805
	v_mul_f32_e32 v16, s5, v16                                 // 0000000065B8: 0A202005
	v_exp_f32_e32 v16, v16                                     // 0000000065BC: 7E204110
	v_fma_f32 v32, v32, s5, -v21                               // 0000000065C0: D1CB0020 84540B20
	v_fma_f32 v33, v33, s5, -v21                               // 0000000065C8: D1CB0021 84540B21
	v_fma_f32 v34, v34, s5, -v21                               // 0000000065D0: D1CB0022 84540B22
	v_fma_f32 v35, v35, s5, -v21                               // 0000000065D8: D1CB0023 84540B23
	v_exp_f32_e32 v32, v32                                     // 0000000065E0: 7E404120
	v_exp_f32_e32 v33, v33                                     // 0000000065E4: 7E424121
	v_exp_f32_e32 v34, v34                                     // 0000000065E8: 7E444122
	v_exp_f32_e32 v35, v35                                     // 0000000065EC: 7E464123
	v_mul_f32_e32 v14, v16, v14                                // 0000000065F0: 0A1C1D10
	v_mov_b32_e32 v22, v32                                     // 0000000065F4: 7E2C0320
	v_add_f32_e32 v22, v33, v22                                // 0000000065F8: 022C2D21
	v_add_f32_e32 v22, v34, v22                                // 0000000065FC: 022C2D22
	v_add_f32_e32 v22, v35, v22                                // 000000006600: 022C2D23
	v_add_f32_e32 v14, v22, v14                                // 000000006604: 021C1D16
	v_mov_b32_e32 v29, 0xffff0000                              // 000000006608: 7E3A02FF FFFF0000
	v_mov_b32_e32 v30, 0x7fff0000                              // 000000006610: 7E3C02FF 7FFF0000
	v_mov_b32_e32 v31, 0x7fff                                  // 000000006618: 7E3E02FF 00007FFF
	v_cmp_u_f32_e64 s[38:39], v32, v32                         // 000000006620: D0480026 00024120
	v_add3_u32 v28, v32, v31, 1                                // 000000006628: D1FF001C 02063F20
	v_cndmask_b32_e64 v20, v28, v30, s[38:39]                  // 000000006630: D1000014 009A3D1C
	v_cmp_u_f32_e64 s[38:39], v33, v33                         // 000000006638: D0480026 00024321
	v_add3_u32 v28, v33, v31, 1                                // 000000006640: D1FF001C 02063F21
	v_cndmask_b32_e64 v21, v28, v30, s[38:39]                  // 000000006648: D1000015 009A3D1C
	v_perm_b32 v32, v21, v20, s52                              // 000000006650: D1ED0020 00D22915
	v_cmp_u_f32_e64 s[38:39], v34, v34                         // 000000006658: D0480026 00024522
	v_add3_u32 v28, v34, v31, 1                                // 000000006660: D1FF001C 02063F22
	v_cndmask_b32_e64 v20, v28, v30, s[38:39]                  // 000000006668: D1000014 009A3D1C
	v_cmp_u_f32_e64 s[38:39], v35, v35                         // 000000006670: D0480026 00024723
	v_add3_u32 v28, v35, v31, 1                                // 000000006678: D1FF001C 02063F23
	v_cndmask_b32_e64 v21, v28, v30, s[38:39]                  // 000000006680: D1000015 009A3D1C
	v_perm_b32 v33, v21, v20, s52                              // 000000006688: D1ED0021 00D22915
	s_nop 2                                                    // 000000006690: BF800002
	s_add_u32 s83, s84, s83                                    // 000000006694: 80535354
	s_nop 0                                                    // 000000006698: BF800000
	v_mov_b32_e32 v22, v16                                     // 00000000669C: 7E2C0310
	v_mov_b32_e32 v23, v16                                     // 0000000066A0: 7E2E0310
	v_pk_mul_f32 v[40:41], v[22:23], v[40:41]                  // 0000000066A4: D3B14028 18025116
	v_pk_mul_f32 v[42:43], v[22:23], v[42:43]                  // 0000000066AC: D3B1402A 18025516
	v_pk_mul_f32 v[44:45], v[22:23], v[44:45]                  // 0000000066B4: D3B1402C 18025916
	v_pk_mul_f32 v[46:47], v[22:23], v[46:47]                  // 0000000066BC: D3B1402E 18025D16
	v_pk_mul_f32 v[48:49], v[22:23], v[48:49]                  // 0000000066C4: D3B14030 18026116
	v_pk_mul_f32 v[50:51], v[22:23], v[50:51]                  // 0000000066CC: D3B14032 18026516
	v_pk_mul_f32 v[52:53], v[22:23], v[52:53]                  // 0000000066D4: D3B14034 18026916
	v_pk_mul_f32 v[54:55], v[22:23], v[54:55]                  // 0000000066DC: D3B14036 18026D16
	v_pk_mul_f32 v[56:57], v[22:23], v[56:57]                  // 0000000066E4: D3B14038 18027116
	v_pk_mul_f32 v[58:59], v[22:23], v[58:59]                  // 0000000066EC: D3B1403A 18027516
	v_pk_mul_f32 v[60:61], v[22:23], v[60:61]                  // 0000000066F4: D3B1403C 18027916
	v_pk_mul_f32 v[62:63], v[22:23], v[62:63]                  // 0000000066FC: D3B1403E 18027D16
	v_pk_mul_f32 v[64:65], v[22:23], v[64:65]                  // 000000006704: D3B14040 18028116
	v_pk_mul_f32 v[66:67], v[22:23], v[66:67]                  // 00000000670C: D3B14042 18028516
	v_pk_mul_f32 v[68:69], v[22:23], v[68:69]                  // 000000006714: D3B14044 18028916
	v_pk_mul_f32 v[70:71], v[22:23], v[70:71]                  // 00000000671C: D3B14046 18028D16
	v_pk_mul_f32 v[72:73], v[22:23], v[72:73]                  // 000000006724: D3B14048 18029116
	v_pk_mul_f32 v[74:75], v[22:23], v[74:75]                  // 00000000672C: D3B1404A 18029516
	v_pk_mul_f32 v[76:77], v[22:23], v[76:77]                  // 000000006734: D3B1404C 18029916
	v_pk_mul_f32 v[78:79], v[22:23], v[78:79]                  // 00000000673C: D3B1404E 18029D16
	v_pk_mul_f32 v[80:81], v[22:23], v[80:81]                  // 000000006744: D3B14050 1802A116
	v_pk_mul_f32 v[82:83], v[22:23], v[82:83]                  // 00000000674C: D3B14052 1802A516
	v_pk_mul_f32 v[84:85], v[22:23], v[84:85]                  // 000000006754: D3B14054 1802A916
	v_pk_mul_f32 v[86:87], v[22:23], v[86:87]                  // 00000000675C: D3B14056 1802AD16
	v_pk_mul_f32 v[88:89], v[22:23], v[88:89]                  // 000000006764: D3B14058 1802B116
	v_pk_mul_f32 v[90:91], v[22:23], v[90:91]                  // 00000000676C: D3B1405A 1802B516
	v_pk_mul_f32 v[92:93], v[22:23], v[92:93]                  // 000000006774: D3B1405C 1802B916
	v_pk_mul_f32 v[94:95], v[22:23], v[94:95]                  // 00000000677C: D3B1405E 1802BD16
	v_pk_mul_f32 v[96:97], v[22:23], v[96:97]                  // 000000006784: D3B14060 1802C116
	v_pk_mul_f32 v[98:99], v[22:23], v[98:99]                  // 00000000678C: D3B14062 1802C516
	v_pk_mul_f32 v[100:101], v[22:23], v[100:101]              // 000000006794: D3B14064 1802C916
	v_pk_mul_f32 v[102:103], v[22:23], v[102:103]              // 00000000679C: D3B14066 1802CD16
	v_pk_mul_f32 v[104:105], v[22:23], v[104:105]              // 0000000067A4: D3B14068 1802D116
	v_pk_mul_f32 v[106:107], v[22:23], v[106:107]              // 0000000067AC: D3B1406A 1802D516
	v_pk_mul_f32 v[108:109], v[22:23], v[108:109]              // 0000000067B4: D3B1406C 1802D916
	v_pk_mul_f32 v[110:111], v[22:23], v[110:111]              // 0000000067BC: D3B1406E 1802DD16
	v_pk_mul_f32 v[112:113], v[22:23], v[112:113]              // 0000000067C4: D3B14070 1802E116
	v_pk_mul_f32 v[114:115], v[22:23], v[114:115]              // 0000000067CC: D3B14072 1802E516
	v_pk_mul_f32 v[116:117], v[22:23], v[116:117]              // 0000000067D4: D3B14074 1802E916
	v_pk_mul_f32 v[118:119], v[22:23], v[118:119]              // 0000000067DC: D3B14076 1802ED16
	v_pk_mul_f32 v[120:121], v[22:23], v[120:121]              // 0000000067E4: D3B14078 1802F116
	v_pk_mul_f32 v[122:123], v[22:23], v[122:123]              // 0000000067EC: D3B1407A 1802F516
	v_pk_mul_f32 v[124:125], v[22:23], v[124:125]              // 0000000067F4: D3B1407C 1802F916
	v_pk_mul_f32 v[126:127], v[22:23], v[126:127]              // 0000000067FC: D3B1407E 1802FD16
	v_pk_mul_f32 v[128:129], v[22:23], v[128:129]              // 000000006804: D3B14080 18030116
	v_pk_mul_f32 v[130:131], v[22:23], v[130:131]              // 00000000680C: D3B14082 18030516
	v_pk_mul_f32 v[132:133], v[22:23], v[132:133]              // 000000006814: D3B14084 18030916
	v_pk_mul_f32 v[134:135], v[22:23], v[134:135]              // 00000000681C: D3B14086 18030D16
	v_pk_mul_f32 v[136:137], v[22:23], v[136:137]              // 000000006824: D3B14088 18031116
	v_pk_mul_f32 v[138:139], v[22:23], v[138:139]              // 00000000682C: D3B1408A 18031516
	v_pk_mul_f32 v[140:141], v[22:23], v[140:141]              // 000000006834: D3B1408C 18031916
	v_pk_mul_f32 v[142:143], v[22:23], v[142:143]              // 00000000683C: D3B1408E 18031D16
	v_pk_mul_f32 v[144:145], v[22:23], v[144:145]              // 000000006844: D3B14090 18032116
	v_pk_mul_f32 v[146:147], v[22:23], v[146:147]              // 00000000684C: D3B14092 18032516
	v_pk_mul_f32 v[148:149], v[22:23], v[148:149]              // 000000006854: D3B14094 18032916
	v_pk_mul_f32 v[150:151], v[22:23], v[150:151]              // 00000000685C: D3B14096 18032D16
	v_pk_mul_f32 v[152:153], v[22:23], v[152:153]              // 000000006864: D3B14098 18033116
	v_pk_mul_f32 v[154:155], v[22:23], v[154:155]              // 00000000686C: D3B1409A 18033516
	v_pk_mul_f32 v[156:157], v[22:23], v[156:157]              // 000000006874: D3B1409C 18033916
	v_pk_mul_f32 v[158:159], v[22:23], v[158:159]              // 00000000687C: D3B1409E 18033D16
	v_pk_mul_f32 v[160:161], v[22:23], v[160:161]              // 000000006884: D3B140A0 18034116
	v_pk_mul_f32 v[162:163], v[22:23], v[162:163]              // 00000000688C: D3B140A2 18034516
	v_pk_mul_f32 v[164:165], v[22:23], v[164:165]              // 000000006894: D3B140A4 18034916
	v_pk_mul_f32 v[166:167], v[22:23], v[166:167]              // 00000000689C: D3B140A6 18034D16
	s_waitcnt lgkmcnt(0)                                       // 0000000068A4: BF8CC07F
	v_mfma_f32_16x16x16_bf16 v[40:43], a[144:145], v[32:33], v[40:43]// 0000000068A8: D3E10028 0CA24190
	ds_read_b128 a[176:179], v7 offset:45312                   // 0000000068B0: DBFEB100 B0000007
	ds_read_b128 a[180:183], v7 offset:46336                   // 0000000068B8: DBFEB500 B4000007
	v_mfma_f32_16x16x16_bf16 v[44:47], a[146:147], v[32:33], v[44:47]// 0000000068C0: D3E1002C 0CB24192
	v_mfma_f32_16x16x16_bf16 v[48:51], a[148:149], v[32:33], v[48:51]// 0000000068C8: D3E10030 0CC24194
	v_mfma_f32_16x16x16_bf16 v[52:55], a[150:151], v[32:33], v[52:55]// 0000000068D0: D3E10034 0CD24196
	v_mfma_f32_16x16x16_bf16 v[56:59], a[152:153], v[32:33], v[56:59]// 0000000068D8: D3E10038 0CE24198
	ds_read_b128 a[184:187], v7 offset:47360                   // 0000000068E0: DBFEB900 B8000007
	ds_read_b128 a[188:191], v7 offset:48384                   // 0000000068E8: DBFEBD00 BC000007
	v_mfma_f32_16x16x16_bf16 v[60:63], a[154:155], v[32:33], v[60:63]// 0000000068F0: D3E1003C 0CF2419A
	v_mfma_f32_16x16x16_bf16 v[64:67], a[156:157], v[32:33], v[64:67]// 0000000068F8: D3E10040 0D02419C
	v_mfma_f32_16x16x16_bf16 v[68:71], a[158:159], v[32:33], v[68:71]// 000000006900: D3E10044 0D12419E
	v_mfma_f32_16x16x16_bf16 v[72:75], a[160:161], v[32:33], v[72:75]// 000000006908: D3E10048 0D2241A0
	ds_read_b128 a[192:195], v7 offset:49408                   // 000000006910: DBFEC100 C0000007
	ds_read_b128 a[196:199], v7 offset:50432                   // 000000006918: DBFEC500 C4000007
	v_mfma_f32_16x16x16_bf16 v[76:79], a[162:163], v[32:33], v[76:79]// 000000006920: D3E1004C 0D3241A2
	v_mfma_f32_16x16x16_bf16 v[80:83], a[164:165], v[32:33], v[80:83]// 000000006928: D3E10050 0D4241A4
	v_mfma_f32_16x16x16_bf16 v[84:87], a[166:167], v[32:33], v[84:87]// 000000006930: D3E10054 0D5241A6
	v_mfma_f32_16x16x16_bf16 v[88:91], a[168:169], v[32:33], v[88:91]// 000000006938: D3E10058 0D6241A8
	ds_read_b128 a[200:203], v7 offset:51456                   // 000000006940: DBFEC900 C8000007
	ds_read_b128 a[204:207], v7 offset:52480                   // 000000006948: DBFECD00 CC000007
	v_mfma_f32_16x16x16_bf16 v[92:95], a[170:171], v[32:33], v[92:95]// 000000006950: D3E1005C 0D7241AA
	v_mfma_f32_16x16x16_bf16 v[96:99], a[172:173], v[32:33], v[96:99]// 000000006958: D3E10060 0D8241AC
	v_mfma_f32_16x16x16_bf16 v[100:103], a[174:175], v[32:33], v[100:103]// 000000006960: D3E10064 0D9241AE
	s_waitcnt lgkmcnt(4)                                       // 000000006968: BF8CC47F
	v_mfma_f32_16x16x16_bf16 v[104:107], a[176:177], v[32:33], v[104:107]// 00000000696C: D3E10068 0DA241B0
	v_mfma_f32_16x16x16_bf16 v[108:111], a[178:179], v[32:33], v[108:111]// 000000006974: D3E1006C 0DB241B2
	v_mfma_f32_16x16x16_bf16 v[112:115], a[180:181], v[32:33], v[112:115]// 00000000697C: D3E10070 0DC241B4
	s_waitcnt vmcnt(18) lgkmcnt(0)                             // 000000006984: BF8C4072
	s_barrier                                                  // 000000006988: BF8A0000
	v_mfma_f32_16x16x16_bf16 v[116:119], a[182:183], v[32:33], v[116:119]// 00000000698C: D3E10074 0DD241B6
	v_mfma_f32_16x16x16_bf16 v[120:123], a[184:185], v[32:33], v[120:123]// 000000006994: D3E10078 0DE241B8
	v_mfma_f32_16x16x16_bf16 v[124:127], a[186:187], v[32:33], v[124:127]// 00000000699C: D3E1007C 0DF241BA
	v_mfma_f32_16x16x16_bf16 v[128:131], a[188:189], v[32:33], v[128:131]// 0000000069A4: D3E10080 0E0241BC
	v_mfma_f32_16x16x16_bf16 v[132:135], a[190:191], v[32:33], v[132:135]// 0000000069AC: D3E10084 0E1241BE
	v_mfma_f32_16x16x16_bf16 v[136:139], a[192:193], v[32:33], v[136:139]// 0000000069B4: D3E10088 0E2241C0
	v_mfma_f32_16x16x16_bf16 v[140:143], a[194:195], v[32:33], v[140:143]// 0000000069BC: D3E1008C 0E3241C2
	v_mfma_f32_16x16x16_bf16 v[144:147], a[196:197], v[32:33], v[144:147]// 0000000069C4: D3E10090 0E4241C4
	v_mfma_f32_16x16x16_bf16 v[148:151], a[198:199], v[32:33], v[148:151]// 0000000069CC: D3E10094 0E5241C6
	v_mfma_f32_16x16x16_bf16 v[152:155], a[200:201], v[32:33], v[152:155]// 0000000069D4: D3E10098 0E6241C8
	v_mfma_f32_16x16x16_bf16 v[156:159], a[202:203], v[32:33], v[156:159]// 0000000069DC: D3E1009C 0E7241CA
	v_mfma_f32_16x16x16_bf16 v[160:163], a[204:205], v[32:33], v[160:163]// 0000000069E4: D3E100A0 0E8241CC
	v_mfma_f32_16x16x16_bf16 v[164:167], a[206:207], v[32:33], v[164:167]// 0000000069EC: D3E100A4 0E9241CE
	s_nop 8                                                    // 0000000069F4: BF800008
	s_branch label_11FF                                        // 0000000069F8: BF820000

00000000000069fc <label_11FF>:
	ds_write_b32 v3, v14 offset:55552                          // 0000000069FC: D81AD900 00000E03
	ds_write_b32 v3, v15 offset:56576                          // 000000006A04: D81ADD00 00000F03
	s_waitcnt lgkmcnt(0)                                       // 000000006A0C: BF8CC07F
	ds_read_b32 v20, v2 offset:55552                           // 000000006A10: D86CD900 14000002
	ds_read_b32 v21, v2 offset:55616                           // 000000006A18: D86CD940 15000002
	ds_read_b32 v22, v2 offset:55680                           // 000000006A20: D86CD980 16000002
	ds_read_b32 v23, v2 offset:55744                           // 000000006A28: D86CD9C0 17000002
	ds_read_b32 v24, v2 offset:56576                           // 000000006A30: D86CDD00 18000002
	ds_read_b32 v25, v2 offset:56640                           // 000000006A38: D86CDD40 19000002
	ds_read_b32 v26, v2 offset:56704                           // 000000006A40: D86CDD80 1A000002
	ds_read_b32 v27, v2 offset:56768                           // 000000006A48: D86CDDC0 1B000002
	s_waitcnt lgkmcnt(0)                                       // 000000006A50: BF8CC07F
	v_mov_b32_e32 v14, 0                                       // 000000006A54: 7E1C0280
	v_mov_b32_e32 v15, 0                                       // 000000006A58: 7E1E0280
	v_add_f32_e32 v14, v20, v14                                // 000000006A5C: 021C1D14
	v_add_f32_e32 v15, v24, v15                                // 000000006A60: 021E1F18
	v_add_f32_e32 v14, v21, v14                                // 000000006A64: 021C1D15
	v_add_f32_e32 v15, v25, v15                                // 000000006A68: 021E1F19
	v_add_f32_e32 v14, v22, v14                                // 000000006A6C: 021C1D16
	v_add_f32_e32 v15, v26, v15                                // 000000006A70: 021E1F1A
	v_add_f32_e32 v14, v23, v14                                // 000000006A74: 021C1D17
	v_add_f32_e32 v15, v27, v15                                // 000000006A78: 021E1F1B
	v_mov_b32_e32 v20, 0                                       // 000000006A7C: 7E280280
	v_cmp_eq_u32_e64 s[38:39], v20, v14                        // 000000006A80: D0CA0026 00021D14
	v_cmp_eq_u32_e64 s[40:41], v20, v15                        // 000000006A88: D0CA0028 00021F14
	v_mul_f32_e64 v20, v12, s64                                // 000000006A90: D1050014 0000810C
	v_mul_f32_e64 v22, v13, s64                                // 000000006A98: D1050016 0000810D
	v_log_f32_e32 v21, v14                                     // 000000006AA0: 7E2A430E
	v_log_f32_e32 v23, v15                                     // 000000006AA4: 7E2E430F
	v_cndmask_b32_e64 v14, v14, 1.0, s[38:39]                  // 000000006AA8: D100000E 0099E50E
	v_cndmask_b32_e64 v15, v15, 1.0, s[40:41]                  // 000000006AB0: D100000F 00A1E50F
	s_nop 1                                                    // 000000006AB8: BF800001
	v_rcp_f32_e32 v14, v14                                     // 000000006ABC: 7E1C450E
	v_rcp_f32_e32 v15, v15                                     // 000000006AC0: 7E1E450F
	s_nop 1                                                    // 000000006AC4: BF800001
	v_fma_f32 v24, v21, s63, v20                               // 000000006AC8: D1CB0018 04507F15
	v_fma_f32 v25, v23, s63, v22                               // 000000006AD0: D1CB0019 04587F17
	v_mul_f32_e32 v40, v14, v40                                // 000000006AD8: 0A50510E
	v_mul_f32_e32 v41, v14, v41                                // 000000006ADC: 0A52530E
	v_mul_f32_e32 v42, v14, v42                                // 000000006AE0: 0A54550E
	v_mul_f32_e32 v43, v14, v43                                // 000000006AE4: 0A56570E
	v_mul_f32_e32 v44, v14, v44                                // 000000006AE8: 0A58590E
	v_mul_f32_e32 v45, v14, v45                                // 000000006AEC: 0A5A5B0E
	v_mul_f32_e32 v46, v14, v46                                // 000000006AF0: 0A5C5D0E
	v_mul_f32_e32 v47, v14, v47                                // 000000006AF4: 0A5E5F0E
	v_mul_f32_e32 v48, v14, v48                                // 000000006AF8: 0A60610E
	v_mul_f32_e32 v49, v14, v49                                // 000000006AFC: 0A62630E
	v_mul_f32_e32 v50, v14, v50                                // 000000006B00: 0A64650E
	v_mul_f32_e32 v51, v14, v51                                // 000000006B04: 0A66670E
	v_mul_f32_e32 v52, v14, v52                                // 000000006B08: 0A68690E
	v_mul_f32_e32 v53, v14, v53                                // 000000006B0C: 0A6A6B0E
	v_mul_f32_e32 v54, v14, v54                                // 000000006B10: 0A6C6D0E
	v_mul_f32_e32 v55, v14, v55                                // 000000006B14: 0A6E6F0E
	v_mul_f32_e32 v56, v14, v56                                // 000000006B18: 0A70710E
	v_mul_f32_e32 v57, v14, v57                                // 000000006B1C: 0A72730E
	v_mul_f32_e32 v58, v14, v58                                // 000000006B20: 0A74750E
	v_mul_f32_e32 v59, v14, v59                                // 000000006B24: 0A76770E
	v_mul_f32_e32 v60, v14, v60                                // 000000006B28: 0A78790E
	v_mul_f32_e32 v61, v14, v61                                // 000000006B2C: 0A7A7B0E
	v_mul_f32_e32 v62, v14, v62                                // 000000006B30: 0A7C7D0E
	v_mul_f32_e32 v63, v14, v63                                // 000000006B34: 0A7E7F0E
	v_mul_f32_e32 v64, v14, v64                                // 000000006B38: 0A80810E
	v_mul_f32_e32 v65, v14, v65                                // 000000006B3C: 0A82830E
	v_mul_f32_e32 v66, v14, v66                                // 000000006B40: 0A84850E
	v_mul_f32_e32 v67, v14, v67                                // 000000006B44: 0A86870E
	v_mul_f32_e32 v68, v14, v68                                // 000000006B48: 0A88890E
	v_mul_f32_e32 v69, v14, v69                                // 000000006B4C: 0A8A8B0E
	v_mul_f32_e32 v70, v14, v70                                // 000000006B50: 0A8C8D0E
	v_mul_f32_e32 v71, v14, v71                                // 000000006B54: 0A8E8F0E
	v_mul_f32_e32 v72, v14, v72                                // 000000006B58: 0A90910E
	v_mul_f32_e32 v73, v14, v73                                // 000000006B5C: 0A92930E
	v_mul_f32_e32 v74, v14, v74                                // 000000006B60: 0A94950E
	v_mul_f32_e32 v75, v14, v75                                // 000000006B64: 0A96970E
	v_mul_f32_e32 v76, v14, v76                                // 000000006B68: 0A98990E
	v_mul_f32_e32 v77, v14, v77                                // 000000006B6C: 0A9A9B0E
	v_mul_f32_e32 v78, v14, v78                                // 000000006B70: 0A9C9D0E
	v_mul_f32_e32 v79, v14, v79                                // 000000006B74: 0A9E9F0E
	v_mul_f32_e32 v80, v14, v80                                // 000000006B78: 0AA0A10E
	v_mul_f32_e32 v81, v14, v81                                // 000000006B7C: 0AA2A30E
	v_mul_f32_e32 v82, v14, v82                                // 000000006B80: 0AA4A50E
	v_mul_f32_e32 v83, v14, v83                                // 000000006B84: 0AA6A70E
	v_mul_f32_e32 v84, v14, v84                                // 000000006B88: 0AA8A90E
	v_mul_f32_e32 v85, v14, v85                                // 000000006B8C: 0AAAAB0E
	v_mul_f32_e32 v86, v14, v86                                // 000000006B90: 0AACAD0E
	v_mul_f32_e32 v87, v14, v87                                // 000000006B94: 0AAEAF0E
	v_mul_f32_e32 v88, v14, v88                                // 000000006B98: 0AB0B10E
	v_mul_f32_e32 v89, v14, v89                                // 000000006B9C: 0AB2B30E
	v_mul_f32_e32 v90, v14, v90                                // 000000006BA0: 0AB4B50E
	v_mul_f32_e32 v91, v14, v91                                // 000000006BA4: 0AB6B70E
	v_mul_f32_e32 v92, v14, v92                                // 000000006BA8: 0AB8B90E
	v_mul_f32_e32 v93, v14, v93                                // 000000006BAC: 0ABABB0E
	v_mul_f32_e32 v94, v14, v94                                // 000000006BB0: 0ABCBD0E
	v_mul_f32_e32 v95, v14, v95                                // 000000006BB4: 0ABEBF0E
	v_mul_f32_e32 v96, v14, v96                                // 000000006BB8: 0AC0C10E
	v_mul_f32_e32 v97, v14, v97                                // 000000006BBC: 0AC2C30E
	v_mul_f32_e32 v98, v14, v98                                // 000000006BC0: 0AC4C50E
	v_mul_f32_e32 v99, v14, v99                                // 000000006BC4: 0AC6C70E
	v_mul_f32_e32 v100, v14, v100                              // 000000006BC8: 0AC8C90E
	v_mul_f32_e32 v101, v14, v101                              // 000000006BCC: 0ACACB0E
	v_mul_f32_e32 v102, v14, v102                              // 000000006BD0: 0ACCCD0E
	v_mul_f32_e32 v103, v14, v103                              // 000000006BD4: 0ACECF0E
	v_mul_f32_e32 v104, v14, v104                              // 000000006BD8: 0AD0D10E
	v_mul_f32_e32 v105, v14, v105                              // 000000006BDC: 0AD2D30E
	v_mul_f32_e32 v106, v14, v106                              // 000000006BE0: 0AD4D50E
	v_mul_f32_e32 v107, v14, v107                              // 000000006BE4: 0AD6D70E
	v_mul_f32_e32 v108, v14, v108                              // 000000006BE8: 0AD8D90E
	v_mul_f32_e32 v109, v14, v109                              // 000000006BEC: 0ADADB0E
	v_mul_f32_e32 v110, v14, v110                              // 000000006BF0: 0ADCDD0E
	v_mul_f32_e32 v111, v14, v111                              // 000000006BF4: 0ADEDF0E
	v_mul_f32_e32 v112, v14, v112                              // 000000006BF8: 0AE0E10E
	v_mul_f32_e32 v113, v14, v113                              // 000000006BFC: 0AE2E30E
	v_mul_f32_e32 v114, v14, v114                              // 000000006C00: 0AE4E50E
	v_mul_f32_e32 v115, v14, v115                              // 000000006C04: 0AE6E70E
	v_mul_f32_e32 v116, v14, v116                              // 000000006C08: 0AE8E90E
	v_mul_f32_e32 v117, v14, v117                              // 000000006C0C: 0AEAEB0E
	v_mul_f32_e32 v118, v14, v118                              // 000000006C10: 0AECED0E
	v_mul_f32_e32 v119, v14, v119                              // 000000006C14: 0AEEEF0E
	v_mul_f32_e32 v120, v14, v120                              // 000000006C18: 0AF0F10E
	v_mul_f32_e32 v121, v14, v121                              // 000000006C1C: 0AF2F30E
	v_mul_f32_e32 v122, v14, v122                              // 000000006C20: 0AF4F50E
	v_mul_f32_e32 v123, v14, v123                              // 000000006C24: 0AF6F70E
	v_mul_f32_e32 v124, v14, v124                              // 000000006C28: 0AF8F90E
	v_mul_f32_e32 v125, v14, v125                              // 000000006C2C: 0AFAFB0E
	v_mul_f32_e32 v126, v14, v126                              // 000000006C30: 0AFCFD0E
	v_mul_f32_e32 v127, v14, v127                              // 000000006C34: 0AFEFF0E
	v_mul_f32_e32 v128, v14, v128                              // 000000006C38: 0B01010E
	v_mul_f32_e32 v129, v14, v129                              // 000000006C3C: 0B03030E
	v_mul_f32_e32 v130, v14, v130                              // 000000006C40: 0B05050E
	v_mul_f32_e32 v131, v14, v131                              // 000000006C44: 0B07070E
	v_mul_f32_e32 v132, v14, v132                              // 000000006C48: 0B09090E
	v_mul_f32_e32 v133, v14, v133                              // 000000006C4C: 0B0B0B0E
	v_mul_f32_e32 v134, v14, v134                              // 000000006C50: 0B0D0D0E
	v_mul_f32_e32 v135, v14, v135                              // 000000006C54: 0B0F0F0E
	v_mul_f32_e32 v136, v14, v136                              // 000000006C58: 0B11110E
	v_mul_f32_e32 v137, v14, v137                              // 000000006C5C: 0B13130E
	v_mul_f32_e32 v138, v14, v138                              // 000000006C60: 0B15150E
	v_mul_f32_e32 v139, v14, v139                              // 000000006C64: 0B17170E
	v_mul_f32_e32 v140, v14, v140                              // 000000006C68: 0B19190E
	v_mul_f32_e32 v141, v14, v141                              // 000000006C6C: 0B1B1B0E
	v_mul_f32_e32 v142, v14, v142                              // 000000006C70: 0B1D1D0E
	v_mul_f32_e32 v143, v14, v143                              // 000000006C74: 0B1F1F0E
	v_mul_f32_e32 v144, v14, v144                              // 000000006C78: 0B21210E
	v_mul_f32_e32 v145, v14, v145                              // 000000006C7C: 0B23230E
	v_mul_f32_e32 v146, v14, v146                              // 000000006C80: 0B25250E
	v_mul_f32_e32 v147, v14, v147                              // 000000006C84: 0B27270E
	v_mul_f32_e32 v148, v14, v148                              // 000000006C88: 0B29290E
	v_mul_f32_e32 v149, v14, v149                              // 000000006C8C: 0B2B2B0E
	v_mul_f32_e32 v150, v14, v150                              // 000000006C90: 0B2D2D0E
	v_mul_f32_e32 v151, v14, v151                              // 000000006C94: 0B2F2F0E
	v_mul_f32_e32 v152, v14, v152                              // 000000006C98: 0B31310E
	v_mul_f32_e32 v153, v14, v153                              // 000000006C9C: 0B33330E
	v_mul_f32_e32 v154, v14, v154                              // 000000006CA0: 0B35350E
	v_mul_f32_e32 v155, v14, v155                              // 000000006CA4: 0B37370E
	v_mul_f32_e32 v156, v14, v156                              // 000000006CA8: 0B39390E
	v_mul_f32_e32 v157, v14, v157                              // 000000006CAC: 0B3B3B0E
	v_mul_f32_e32 v158, v14, v158                              // 000000006CB0: 0B3D3D0E
	v_mul_f32_e32 v159, v14, v159                              // 000000006CB4: 0B3F3F0E
	v_mul_f32_e32 v160, v14, v160                              // 000000006CB8: 0B41410E
	v_mul_f32_e32 v161, v14, v161                              // 000000006CBC: 0B43430E
	v_mul_f32_e32 v162, v14, v162                              // 000000006CC0: 0B45450E
	v_mul_f32_e32 v163, v14, v163                              // 000000006CC4: 0B47470E
	v_mul_f32_e32 v164, v14, v164                              // 000000006CC8: 0B49490E
	v_mul_f32_e32 v165, v14, v165                              // 000000006CCC: 0B4B4B0E
	v_mul_f32_e32 v166, v14, v166                              // 000000006CD0: 0B4D4D0E
	v_mul_f32_e32 v167, v14, v167                              // 000000006CD4: 0B4F4F0E
	s_cmp_lt_i32 s87, 0                                        // 000000006CD8: BF048057
	s_cbranch_scc0 label_17AB                                  // 000000006CDC: BF8404F3
	s_mov_b32 s75, 0x4000                                      // 000000006CE0: BECB00FF 00004000
	s_mul_i32 s56, s75, s78                                    // 000000006CE8: 92384E4B
	s_add_u32 s88, s56, s88                                    // 000000006CEC: 80585838
	s_addc_u32 s89, 0, s89                                     // 000000006CF0: 82595980
	s_sub_u32 s56, s81, s80                                    // 000000006CF4: 80B85051
	s_mul_i32 s56, s56, s75                                    // 000000006CF8: 92384B38
	s_mov_b32 s90, s56                                         // 000000006CFC: BEDA0038
	v_and_b32_e32 v20, 7, v0                                   // 000000006D00: 26280087
	v_lshlrev_b32_e32 v18, 4, v20                              // 000000006D04: 24242884
	v_lshrrev_b32_e32 v20, 3, v0                               // 000000006D08: 20280083
	v_mul_i32_i24_e32 v20, 0x400, v20                          // 000000006D0C: 0C2828FF 00000400
	s_mul_i32 s57, s75, s7                                     // 000000006D14: 9239074B
	v_add_u32_e32 v20, s57, v20                                // 000000006D18: 68282839
	v_add_u32_e32 v18, v18, v20                                // 000000006D1C: 68242912
	v_mov_b32_e32 v19, v18                                     // 000000006D20: 7E260312
	s_waitcnt vmcnt(0) lgkmcnt(0)                              // 000000006D24: BF8C0070
	s_barrier                                                  // 000000006D28: BF8A0000
	s_mul_i32 s75, 0x400, s65                                  // 000000006D2C: 924B41FF 00000400
	s_mul_i32 s76, s67, s75                                    // 000000006D34: 924C4B43
	v_lshrrev_b32_e32 v20, 4, v0                               // 000000006D38: 20280084
	v_mul_i32_i24_e32 v5, 0x48, v20                            // 000000006D3C: 0C0A28FF 00000048
	v_and_b32_e32 v20, 15, v0                                  // 000000006D44: 2628008F
	v_mul_i32_i24_e32 v20, 2, v20                              // 000000006D48: 0C282882
	v_add_u32_e32 v5, v20, v5                                  // 000000006D4C: 680A0B14
	s_mul_i32 s56, s7, 0x480                                   // 000000006D50: 9238FF07 00000480
	v_add_u32_e32 v5, s56, v5                                  // 000000006D58: 680A0A38
	v_lshlrev_b32_e32 v5, 2, v5                                // 000000006D5C: 240A0A82
	v_lshrrev_b32_e32 v20, 3, v0                               // 000000006D60: 20280083
	v_mul_i32_i24_e32 v4, 2, v20                               // 000000006D64: 0C082882
	v_and_b32_e32 v20, 7, v0                                   // 000000006D68: 26280087
	v_mul_i32_i24_e32 v20, 36, v20                             // 000000006D6C: 0C2828A4
	v_add_u32_e32 v4, v20, v4                                  // 000000006D70: 68080914
	s_mul_i32 s56, s7, 0x480                                   // 000000006D74: 9238FF07 00000480
	v_add_u32_e32 v4, s56, v4                                  // 000000006D7C: 68080838
	v_lshlrev_b32_e32 v4, 2, v4                                // 000000006D80: 24080882
	v_mov_b32_e32 v29, 0xffff0000                              // 000000006D84: 7E3A02FF FFFF0000
	v_mov_b32_e32 v30, 0x7fff0000                              // 000000006D8C: 7E3C02FF 7FFF0000
	v_mov_b32_e32 v31, 0x7fff                                  // 000000006D94: 7E3E02FF 00007FFF
	s_mul_i32 s56, 0, s76                                      // 000000006D9C: 92384C80
	v_add_u32_e64 v19, v19, s56                                // 000000006DA0: D1340013 00007113
	v_mov_b32_e32 v24, v40                                     // 000000006DA8: 7E300328
	v_mov_b32_e32 v25, v44                                     // 000000006DAC: 7E32032C
	v_mov_b32_e32 v26, v48                                     // 000000006DB0: 7E340330
	v_mov_b32_e32 v27, v52                                     // 000000006DB4: 7E360334
	v_cmp_u_f32_e64 s[38:39], v24, v24                         // 000000006DB8: D0480026 00023118
	v_add3_u32 v28, v24, v31, 1                                // 000000006DC0: D1FF001C 02063F18
	v_cndmask_b32_e64 v20, v28, v30, s[38:39]                  // 000000006DC8: D1000014 009A3D1C
	v_cmp_u_f32_e64 s[38:39], v25, v25                         // 000000006DD0: D0480026 00023319
	v_add3_u32 v28, v25, v31, 1                                // 000000006DD8: D1FF001C 02063F19
	v_cndmask_b32_e64 v21, v28, v30, s[38:39]                  // 000000006DE0: D1000015 009A3D1C
	v_perm_b32 v24, v21, v20, s52                              // 000000006DE8: D1ED0018 00D22915
	v_cmp_u_f32_e64 s[38:39], v26, v26                         // 000000006DF0: D0480026 0002351A
	v_add3_u32 v28, v26, v31, 1                                // 000000006DF8: D1FF001C 02063F1A
	v_cndmask_b32_e64 v20, v28, v30, s[38:39]                  // 000000006E00: D1000014 009A3D1C
	v_cmp_u_f32_e64 s[38:39], v27, v27                         // 000000006E08: D0480026 0002371B
	v_add3_u32 v28, v27, v31, 1                                // 000000006E10: D1FF001C 02063F1B
	v_cndmask_b32_e64 v21, v28, v30, s[38:39]                  // 000000006E18: D1000015 009A3D1C
	v_perm_b32 v25, v21, v20, s52                              // 000000006E20: D1ED0019 00D22915
	ds_write_b64 v5, v[24:25]                                  // 000000006E28: D89A0000 00001805
	v_mov_b32_e32 v24, v41                                     // 000000006E30: 7E300329
	v_mov_b32_e32 v25, v45                                     // 000000006E34: 7E32032D
	v_mov_b32_e32 v26, v49                                     // 000000006E38: 7E340331
	v_mov_b32_e32 v27, v53                                     // 000000006E3C: 7E360335
	v_cmp_u_f32_e64 s[38:39], v24, v24                         // 000000006E40: D0480026 00023118
	v_add3_u32 v28, v24, v31, 1                                // 000000006E48: D1FF001C 02063F18
	v_cndmask_b32_e64 v20, v28, v30, s[38:39]                  // 000000006E50: D1000014 009A3D1C
	v_cmp_u_f32_e64 s[38:39], v25, v25                         // 000000006E58: D0480026 00023319
	v_add3_u32 v28, v25, v31, 1                                // 000000006E60: D1FF001C 02063F19
	v_cndmask_b32_e64 v21, v28, v30, s[38:39]                  // 000000006E68: D1000015 009A3D1C
	v_perm_b32 v24, v21, v20, s52                              // 000000006E70: D1ED0018 00D22915
	v_cmp_u_f32_e64 s[38:39], v26, v26                         // 000000006E78: D0480026 0002351A
	v_add3_u32 v28, v26, v31, 1                                // 000000006E80: D1FF001C 02063F1A
	v_cndmask_b32_e64 v20, v28, v30, s[38:39]                  // 000000006E88: D1000014 009A3D1C
	v_cmp_u_f32_e64 s[38:39], v27, v27                         // 000000006E90: D0480026 0002371B
	v_add3_u32 v28, v27, v31, 1                                // 000000006E98: D1FF001C 02063F1B
	v_cndmask_b32_e64 v21, v28, v30, s[38:39]                  // 000000006EA0: D1000015 009A3D1C
	v_perm_b32 v25, v21, v20, s52                              // 000000006EA8: D1ED0019 00D22915
	ds_write_b64 v5, v[24:25] offset:1152                      // 000000006EB0: D89A0480 00001805
	v_mov_b32_e32 v24, v42                                     // 000000006EB8: 7E30032A
	v_mov_b32_e32 v25, v46                                     // 000000006EBC: 7E32032E
	v_mov_b32_e32 v26, v50                                     // 000000006EC0: 7E340332
	v_mov_b32_e32 v27, v54                                     // 000000006EC4: 7E360336
	v_cmp_u_f32_e64 s[38:39], v24, v24                         // 000000006EC8: D0480026 00023118
	v_add3_u32 v28, v24, v31, 1                                // 000000006ED0: D1FF001C 02063F18
	v_cndmask_b32_e64 v20, v28, v30, s[38:39]                  // 000000006ED8: D1000014 009A3D1C
	v_cmp_u_f32_e64 s[38:39], v25, v25                         // 000000006EE0: D0480026 00023319
	v_add3_u32 v28, v25, v31, 1                                // 000000006EE8: D1FF001C 02063F19
	v_cndmask_b32_e64 v21, v28, v30, s[38:39]                  // 000000006EF0: D1000015 009A3D1C
	v_perm_b32 v24, v21, v20, s52                              // 000000006EF8: D1ED0018 00D22915
	v_cmp_u_f32_e64 s[38:39], v26, v26                         // 000000006F00: D0480026 0002351A
	v_add3_u32 v28, v26, v31, 1                                // 000000006F08: D1FF001C 02063F1A
	v_cndmask_b32_e64 v20, v28, v30, s[38:39]                  // 000000006F10: D1000014 009A3D1C
	v_cmp_u_f32_e64 s[38:39], v27, v27                         // 000000006F18: D0480026 0002371B
	v_add3_u32 v28, v27, v31, 1                                // 000000006F20: D1FF001C 02063F1B
	v_cndmask_b32_e64 v21, v28, v30, s[38:39]                  // 000000006F28: D1000015 009A3D1C
	v_perm_b32 v25, v21, v20, s52                              // 000000006F30: D1ED0019 00D22915
	ds_write_b64 v5, v[24:25] offset:144                       // 000000006F38: D89A0090 00001805
	v_mov_b32_e32 v24, v43                                     // 000000006F40: 7E30032B
	v_mov_b32_e32 v25, v47                                     // 000000006F44: 7E32032F
	v_mov_b32_e32 v26, v51                                     // 000000006F48: 7E340333
	v_mov_b32_e32 v27, v55                                     // 000000006F4C: 7E360337
	v_cmp_u_f32_e64 s[38:39], v24, v24                         // 000000006F50: D0480026 00023118
	v_add3_u32 v28, v24, v31, 1                                // 000000006F58: D1FF001C 02063F18
	v_cndmask_b32_e64 v20, v28, v30, s[38:39]                  // 000000006F60: D1000014 009A3D1C
	v_cmp_u_f32_e64 s[38:39], v25, v25                         // 000000006F68: D0480026 00023319
	v_add3_u32 v28, v25, v31, 1                                // 000000006F70: D1FF001C 02063F19
	v_cndmask_b32_e64 v21, v28, v30, s[38:39]                  // 000000006F78: D1000015 009A3D1C
	v_perm_b32 v24, v21, v20, s52                              // 000000006F80: D1ED0018 00D22915
	v_cmp_u_f32_e64 s[38:39], v26, v26                         // 000000006F88: D0480026 0002351A
	v_add3_u32 v28, v26, v31, 1                                // 000000006F90: D1FF001C 02063F1A
	v_cndmask_b32_e64 v20, v28, v30, s[38:39]                  // 000000006F98: D1000014 009A3D1C
	v_cmp_u_f32_e64 s[38:39], v27, v27                         // 000000006FA0: D0480026 0002371B
	v_add3_u32 v28, v27, v31, 1                                // 000000006FA8: D1FF001C 02063F1B
	v_cndmask_b32_e64 v21, v28, v30, s[38:39]                  // 000000006FB0: D1000015 009A3D1C
	v_perm_b32 v25, v21, v20, s52                              // 000000006FB8: D1ED0019 00D22915
	ds_write_b64 v5, v[24:25] offset:1296                      // 000000006FC0: D89A0510 00001805
	v_mov_b32_e32 v24, v56                                     // 000000006FC8: 7E300338
	v_mov_b32_e32 v25, v60                                     // 000000006FCC: 7E32033C
	v_mov_b32_e32 v26, v64                                     // 000000006FD0: 7E340340
	v_mov_b32_e32 v27, v68                                     // 000000006FD4: 7E360344
	v_cmp_u_f32_e64 s[38:39], v24, v24                         // 000000006FD8: D0480026 00023118
	v_add3_u32 v28, v24, v31, 1                                // 000000006FE0: D1FF001C 02063F18
	v_cndmask_b32_e64 v20, v28, v30, s[38:39]                  // 000000006FE8: D1000014 009A3D1C
	v_cmp_u_f32_e64 s[38:39], v25, v25                         // 000000006FF0: D0480026 00023319
	v_add3_u32 v28, v25, v31, 1                                // 000000006FF8: D1FF001C 02063F19
	v_cndmask_b32_e64 v21, v28, v30, s[38:39]                  // 000000007000: D1000015 009A3D1C
	v_perm_b32 v24, v21, v20, s52                              // 000000007008: D1ED0018 00D22915
	v_cmp_u_f32_e64 s[38:39], v26, v26                         // 000000007010: D0480026 0002351A
	v_add3_u32 v28, v26, v31, 1                                // 000000007018: D1FF001C 02063F1A
	v_cndmask_b32_e64 v20, v28, v30, s[38:39]                  // 000000007020: D1000014 009A3D1C
	v_cmp_u_f32_e64 s[38:39], v27, v27                         // 000000007028: D0480026 0002371B
	v_add3_u32 v28, v27, v31, 1                                // 000000007030: D1FF001C 02063F1B
	v_cndmask_b32_e64 v21, v28, v30, s[38:39]                  // 000000007038: D1000015 009A3D1C
	v_perm_b32 v25, v21, v20, s52                              // 000000007040: D1ED0019 00D22915
	ds_write_b64 v5, v[24:25] offset:2304                      // 000000007048: D89A0900 00001805
	v_mov_b32_e32 v24, v57                                     // 000000007050: 7E300339
	v_mov_b32_e32 v25, v61                                     // 000000007054: 7E32033D
	v_mov_b32_e32 v26, v65                                     // 000000007058: 7E340341
	v_mov_b32_e32 v27, v69                                     // 00000000705C: 7E360345
	v_cmp_u_f32_e64 s[38:39], v24, v24                         // 000000007060: D0480026 00023118
	v_add3_u32 v28, v24, v31, 1                                // 000000007068: D1FF001C 02063F18
	v_cndmask_b32_e64 v20, v28, v30, s[38:39]                  // 000000007070: D1000014 009A3D1C
	v_cmp_u_f32_e64 s[38:39], v25, v25                         // 000000007078: D0480026 00023319
	v_add3_u32 v28, v25, v31, 1                                // 000000007080: D1FF001C 02063F19
	v_cndmask_b32_e64 v21, v28, v30, s[38:39]                  // 000000007088: D1000015 009A3D1C
	v_perm_b32 v24, v21, v20, s52                              // 000000007090: D1ED0018 00D22915
	v_cmp_u_f32_e64 s[38:39], v26, v26                         // 000000007098: D0480026 0002351A
	v_add3_u32 v28, v26, v31, 1                                // 0000000070A0: D1FF001C 02063F1A
	v_cndmask_b32_e64 v20, v28, v30, s[38:39]                  // 0000000070A8: D1000014 009A3D1C
	v_cmp_u_f32_e64 s[38:39], v27, v27                         // 0000000070B0: D0480026 0002371B
	v_add3_u32 v28, v27, v31, 1                                // 0000000070B8: D1FF001C 02063F1B
	v_cndmask_b32_e64 v21, v28, v30, s[38:39]                  // 0000000070C0: D1000015 009A3D1C
	v_perm_b32 v25, v21, v20, s52                              // 0000000070C8: D1ED0019 00D22915
	ds_write_b64 v5, v[24:25] offset:3456                      // 0000000070D0: D89A0D80 00001805
	v_mov_b32_e32 v24, v58                                     // 0000000070D8: 7E30033A
	v_mov_b32_e32 v25, v62                                     // 0000000070DC: 7E32033E
	v_mov_b32_e32 v26, v66                                     // 0000000070E0: 7E340342
	v_mov_b32_e32 v27, v70                                     // 0000000070E4: 7E360346
	v_cmp_u_f32_e64 s[38:39], v24, v24                         // 0000000070E8: D0480026 00023118
	v_add3_u32 v28, v24, v31, 1                                // 0000000070F0: D1FF001C 02063F18
	v_cndmask_b32_e64 v20, v28, v30, s[38:39]                  // 0000000070F8: D1000014 009A3D1C
	v_cmp_u_f32_e64 s[38:39], v25, v25                         // 000000007100: D0480026 00023319
	v_add3_u32 v28, v25, v31, 1                                // 000000007108: D1FF001C 02063F19
	v_cndmask_b32_e64 v21, v28, v30, s[38:39]                  // 000000007110: D1000015 009A3D1C
	v_perm_b32 v24, v21, v20, s52                              // 000000007118: D1ED0018 00D22915
	v_cmp_u_f32_e64 s[38:39], v26, v26                         // 000000007120: D0480026 0002351A
	v_add3_u32 v28, v26, v31, 1                                // 000000007128: D1FF001C 02063F1A
	v_cndmask_b32_e64 v20, v28, v30, s[38:39]                  // 000000007130: D1000014 009A3D1C
	v_cmp_u_f32_e64 s[38:39], v27, v27                         // 000000007138: D0480026 0002371B
	v_add3_u32 v28, v27, v31, 1                                // 000000007140: D1FF001C 02063F1B
	v_cndmask_b32_e64 v21, v28, v30, s[38:39]                  // 000000007148: D1000015 009A3D1C
	v_perm_b32 v25, v21, v20, s52                              // 000000007150: D1ED0019 00D22915
	ds_write_b64 v5, v[24:25] offset:2448                      // 000000007158: D89A0990 00001805
	v_mov_b32_e32 v24, v59                                     // 000000007160: 7E30033B
	v_mov_b32_e32 v25, v63                                     // 000000007164: 7E32033F
	v_mov_b32_e32 v26, v67                                     // 000000007168: 7E340343
	v_mov_b32_e32 v27, v71                                     // 00000000716C: 7E360347
	v_cmp_u_f32_e64 s[38:39], v24, v24                         // 000000007170: D0480026 00023118
	v_add3_u32 v28, v24, v31, 1                                // 000000007178: D1FF001C 02063F18
	v_cndmask_b32_e64 v20, v28, v30, s[38:39]                  // 000000007180: D1000014 009A3D1C
	v_cmp_u_f32_e64 s[38:39], v25, v25                         // 000000007188: D0480026 00023319
	v_add3_u32 v28, v25, v31, 1                                // 000000007190: D1FF001C 02063F19
	v_cndmask_b32_e64 v21, v28, v30, s[38:39]                  // 000000007198: D1000015 009A3D1C
	v_perm_b32 v24, v21, v20, s52                              // 0000000071A0: D1ED0018 00D22915
	v_cmp_u_f32_e64 s[38:39], v26, v26                         // 0000000071A8: D0480026 0002351A
	v_add3_u32 v28, v26, v31, 1                                // 0000000071B0: D1FF001C 02063F1A
	v_cndmask_b32_e64 v20, v28, v30, s[38:39]                  // 0000000071B8: D1000014 009A3D1C
	v_cmp_u_f32_e64 s[38:39], v27, v27                         // 0000000071C0: D0480026 0002371B
	v_add3_u32 v28, v27, v31, 1                                // 0000000071C8: D1FF001C 02063F1B
	v_cndmask_b32_e64 v21, v28, v30, s[38:39]                  // 0000000071D0: D1000015 009A3D1C
	v_perm_b32 v25, v21, v20, s52                              // 0000000071D8: D1ED0019 00D22915
	ds_write_b64 v5, v[24:25] offset:3600                      // 0000000071E0: D89A0E10 00001805
	s_waitcnt lgkmcnt(4)                                       // 0000000071E8: BF8CC47F
	ds_read_b64 v[40:41], v4                                   // 0000000071EC: D8EC0000 28000004
	ds_read_b64 v[44:45], v4 offset:64                         // 0000000071F4: D8EC0040 2C000004
	ds_read_b64 v[42:43], v4 offset:1152                       // 0000000071FC: D8EC0480 2A000004
	ds_read_b64 v[46:47], v4 offset:1216                       // 000000007204: D8EC04C0 2E000004
	s_waitcnt lgkmcnt(4)                                       // 00000000720C: BF8CC47F
	ds_read_b64 v[48:49], v4 offset:2304                       // 000000007210: D8EC0900 30000004
	ds_read_b64 v[52:53], v4 offset:2368                       // 000000007218: D8EC0940 34000004
	ds_read_b64 v[50:51], v4 offset:3456                       // 000000007220: D8EC0D80 32000004
	ds_read_b64 v[54:55], v4 offset:3520                       // 000000007228: D8EC0DC0 36000004
	s_waitcnt lgkmcnt(0)                                       // 000000007230: BF8CC07F
	v_mov_b32_e32 v18, v19                                     // 000000007234: 7E240313
	buffer_store_dwordx4 v[40:43], v18, s[88:91], 0 offen      // 000000007238: E07C1000 80162812
	buffer_store_dwordx4 v[48:51], v18, s[88:91], 0 offen offset:128// 000000007240: E07C1080 80163012
	v_add_u32_e32 v18, 0x2000, v18                             // 000000007248: 682424FF 00002000
	buffer_store_dwordx4 v[44:47], v18, s[88:91], 0 offen      // 000000007250: E07C1000 80162C12
	buffer_store_dwordx4 v[52:55], v18, s[88:91], 0 offen offset:128// 000000007258: E07C1080 80163412
	v_add_u32_e32 v18, 0x2000, v18                             // 000000007260: 682424FF 00002000
	v_mov_b32_e32 v24, v72                                     // 000000007268: 7E300348
	v_mov_b32_e32 v25, v76                                     // 00000000726C: 7E32034C
	v_mov_b32_e32 v26, v80                                     // 000000007270: 7E340350
	v_mov_b32_e32 v27, v84                                     // 000000007274: 7E360354
	v_cmp_u_f32_e64 s[38:39], v24, v24                         // 000000007278: D0480026 00023118
	v_add3_u32 v28, v24, v31, 1                                // 000000007280: D1FF001C 02063F18
	v_cndmask_b32_e64 v20, v28, v30, s[38:39]                  // 000000007288: D1000014 009A3D1C
	v_cmp_u_f32_e64 s[38:39], v25, v25                         // 000000007290: D0480026 00023319
	v_add3_u32 v28, v25, v31, 1                                // 000000007298: D1FF001C 02063F19
	v_cndmask_b32_e64 v21, v28, v30, s[38:39]                  // 0000000072A0: D1000015 009A3D1C
	v_perm_b32 v24, v21, v20, s52                              // 0000000072A8: D1ED0018 00D22915
	v_cmp_u_f32_e64 s[38:39], v26, v26                         // 0000000072B0: D0480026 0002351A
	v_add3_u32 v28, v26, v31, 1                                // 0000000072B8: D1FF001C 02063F1A
	v_cndmask_b32_e64 v20, v28, v30, s[38:39]                  // 0000000072C0: D1000014 009A3D1C
	v_cmp_u_f32_e64 s[38:39], v27, v27                         // 0000000072C8: D0480026 0002371B
	v_add3_u32 v28, v27, v31, 1                                // 0000000072D0: D1FF001C 02063F1B
	v_cndmask_b32_e64 v21, v28, v30, s[38:39]                  // 0000000072D8: D1000015 009A3D1C
	v_perm_b32 v25, v21, v20, s52                              // 0000000072E0: D1ED0019 00D22915
	ds_write_b64 v5, v[24:25]                                  // 0000000072E8: D89A0000 00001805
	v_mov_b32_e32 v24, v73                                     // 0000000072F0: 7E300349
	v_mov_b32_e32 v25, v77                                     // 0000000072F4: 7E32034D
	v_mov_b32_e32 v26, v81                                     // 0000000072F8: 7E340351
	v_mov_b32_e32 v27, v85                                     // 0000000072FC: 7E360355
	v_cmp_u_f32_e64 s[38:39], v24, v24                         // 000000007300: D0480026 00023118
	v_add3_u32 v28, v24, v31, 1                                // 000000007308: D1FF001C 02063F18
	v_cndmask_b32_e64 v20, v28, v30, s[38:39]                  // 000000007310: D1000014 009A3D1C
	v_cmp_u_f32_e64 s[38:39], v25, v25                         // 000000007318: D0480026 00023319
	v_add3_u32 v28, v25, v31, 1                                // 000000007320: D1FF001C 02063F19
	v_cndmask_b32_e64 v21, v28, v30, s[38:39]                  // 000000007328: D1000015 009A3D1C
	v_perm_b32 v24, v21, v20, s52                              // 000000007330: D1ED0018 00D22915
	v_cmp_u_f32_e64 s[38:39], v26, v26                         // 000000007338: D0480026 0002351A
	v_add3_u32 v28, v26, v31, 1                                // 000000007340: D1FF001C 02063F1A
	v_cndmask_b32_e64 v20, v28, v30, s[38:39]                  // 000000007348: D1000014 009A3D1C
	v_cmp_u_f32_e64 s[38:39], v27, v27                         // 000000007350: D0480026 0002371B
	v_add3_u32 v28, v27, v31, 1                                // 000000007358: D1FF001C 02063F1B
	v_cndmask_b32_e64 v21, v28, v30, s[38:39]                  // 000000007360: D1000015 009A3D1C
	v_perm_b32 v25, v21, v20, s52                              // 000000007368: D1ED0019 00D22915
	ds_write_b64 v5, v[24:25] offset:1152                      // 000000007370: D89A0480 00001805
	v_mov_b32_e32 v24, v74                                     // 000000007378: 7E30034A
	v_mov_b32_e32 v25, v78                                     // 00000000737C: 7E32034E
	v_mov_b32_e32 v26, v82                                     // 000000007380: 7E340352
	v_mov_b32_e32 v27, v86                                     // 000000007384: 7E360356
	v_cmp_u_f32_e64 s[38:39], v24, v24                         // 000000007388: D0480026 00023118
	v_add3_u32 v28, v24, v31, 1                                // 000000007390: D1FF001C 02063F18
	v_cndmask_b32_e64 v20, v28, v30, s[38:39]                  // 000000007398: D1000014 009A3D1C
	v_cmp_u_f32_e64 s[38:39], v25, v25                         // 0000000073A0: D0480026 00023319
	v_add3_u32 v28, v25, v31, 1                                // 0000000073A8: D1FF001C 02063F19
	v_cndmask_b32_e64 v21, v28, v30, s[38:39]                  // 0000000073B0: D1000015 009A3D1C
	v_perm_b32 v24, v21, v20, s52                              // 0000000073B8: D1ED0018 00D22915
	v_cmp_u_f32_e64 s[38:39], v26, v26                         // 0000000073C0: D0480026 0002351A
	v_add3_u32 v28, v26, v31, 1                                // 0000000073C8: D1FF001C 02063F1A
	v_cndmask_b32_e64 v20, v28, v30, s[38:39]                  // 0000000073D0: D1000014 009A3D1C
	v_cmp_u_f32_e64 s[38:39], v27, v27                         // 0000000073D8: D0480026 0002371B
	v_add3_u32 v28, v27, v31, 1                                // 0000000073E0: D1FF001C 02063F1B
	v_cndmask_b32_e64 v21, v28, v30, s[38:39]                  // 0000000073E8: D1000015 009A3D1C
	v_perm_b32 v25, v21, v20, s52                              // 0000000073F0: D1ED0019 00D22915
	ds_write_b64 v5, v[24:25] offset:144                       // 0000000073F8: D89A0090 00001805
	v_mov_b32_e32 v24, v75                                     // 000000007400: 7E30034B
	v_mov_b32_e32 v25, v79                                     // 000000007404: 7E32034F
	v_mov_b32_e32 v26, v83                                     // 000000007408: 7E340353
	v_mov_b32_e32 v27, v87                                     // 00000000740C: 7E360357
	v_cmp_u_f32_e64 s[38:39], v24, v24                         // 000000007410: D0480026 00023118
	v_add3_u32 v28, v24, v31, 1                                // 000000007418: D1FF001C 02063F18
	v_cndmask_b32_e64 v20, v28, v30, s[38:39]                  // 000000007420: D1000014 009A3D1C
	v_cmp_u_f32_e64 s[38:39], v25, v25                         // 000000007428: D0480026 00023319
	v_add3_u32 v28, v25, v31, 1                                // 000000007430: D1FF001C 02063F19
	v_cndmask_b32_e64 v21, v28, v30, s[38:39]                  // 000000007438: D1000015 009A3D1C
	v_perm_b32 v24, v21, v20, s52                              // 000000007440: D1ED0018 00D22915
	v_cmp_u_f32_e64 s[38:39], v26, v26                         // 000000007448: D0480026 0002351A
	v_add3_u32 v28, v26, v31, 1                                // 000000007450: D1FF001C 02063F1A
	v_cndmask_b32_e64 v20, v28, v30, s[38:39]                  // 000000007458: D1000014 009A3D1C
	v_cmp_u_f32_e64 s[38:39], v27, v27                         // 000000007460: D0480026 0002371B
	v_add3_u32 v28, v27, v31, 1                                // 000000007468: D1FF001C 02063F1B
	v_cndmask_b32_e64 v21, v28, v30, s[38:39]                  // 000000007470: D1000015 009A3D1C
	v_perm_b32 v25, v21, v20, s52                              // 000000007478: D1ED0019 00D22915
	ds_write_b64 v5, v[24:25] offset:1296                      // 000000007480: D89A0510 00001805
	v_mov_b32_e32 v24, v88                                     // 000000007488: 7E300358
	v_mov_b32_e32 v25, v92                                     // 00000000748C: 7E32035C
	v_mov_b32_e32 v26, v96                                     // 000000007490: 7E340360
	v_mov_b32_e32 v27, v100                                    // 000000007494: 7E360364
	v_cmp_u_f32_e64 s[38:39], v24, v24                         // 000000007498: D0480026 00023118
	v_add3_u32 v28, v24, v31, 1                                // 0000000074A0: D1FF001C 02063F18
	v_cndmask_b32_e64 v20, v28, v30, s[38:39]                  // 0000000074A8: D1000014 009A3D1C
	v_cmp_u_f32_e64 s[38:39], v25, v25                         // 0000000074B0: D0480026 00023319
	v_add3_u32 v28, v25, v31, 1                                // 0000000074B8: D1FF001C 02063F19
	v_cndmask_b32_e64 v21, v28, v30, s[38:39]                  // 0000000074C0: D1000015 009A3D1C
	v_perm_b32 v24, v21, v20, s52                              // 0000000074C8: D1ED0018 00D22915
	v_cmp_u_f32_e64 s[38:39], v26, v26                         // 0000000074D0: D0480026 0002351A
	v_add3_u32 v28, v26, v31, 1                                // 0000000074D8: D1FF001C 02063F1A
	v_cndmask_b32_e64 v20, v28, v30, s[38:39]                  // 0000000074E0: D1000014 009A3D1C
	v_cmp_u_f32_e64 s[38:39], v27, v27                         // 0000000074E8: D0480026 0002371B
	v_add3_u32 v28, v27, v31, 1                                // 0000000074F0: D1FF001C 02063F1B
	v_cndmask_b32_e64 v21, v28, v30, s[38:39]                  // 0000000074F8: D1000015 009A3D1C
	v_perm_b32 v25, v21, v20, s52                              // 000000007500: D1ED0019 00D22915
	ds_write_b64 v5, v[24:25] offset:2304                      // 000000007508: D89A0900 00001805
	v_mov_b32_e32 v24, v89                                     // 000000007510: 7E300359
	v_mov_b32_e32 v25, v93                                     // 000000007514: 7E32035D
	v_mov_b32_e32 v26, v97                                     // 000000007518: 7E340361
	v_mov_b32_e32 v27, v101                                    // 00000000751C: 7E360365
	v_cmp_u_f32_e64 s[38:39], v24, v24                         // 000000007520: D0480026 00023118
	v_add3_u32 v28, v24, v31, 1                                // 000000007528: D1FF001C 02063F18
	v_cndmask_b32_e64 v20, v28, v30, s[38:39]                  // 000000007530: D1000014 009A3D1C
	v_cmp_u_f32_e64 s[38:39], v25, v25                         // 000000007538: D0480026 00023319
	v_add3_u32 v28, v25, v31, 1                                // 000000007540: D1FF001C 02063F19
	v_cndmask_b32_e64 v21, v28, v30, s[38:39]                  // 000000007548: D1000015 009A3D1C
	v_perm_b32 v24, v21, v20, s52                              // 000000007550: D1ED0018 00D22915
	v_cmp_u_f32_e64 s[38:39], v26, v26                         // 000000007558: D0480026 0002351A
	v_add3_u32 v28, v26, v31, 1                                // 000000007560: D1FF001C 02063F1A
	v_cndmask_b32_e64 v20, v28, v30, s[38:39]                  // 000000007568: D1000014 009A3D1C
	v_cmp_u_f32_e64 s[38:39], v27, v27                         // 000000007570: D0480026 0002371B
	v_add3_u32 v28, v27, v31, 1                                // 000000007578: D1FF001C 02063F1B
	v_cndmask_b32_e64 v21, v28, v30, s[38:39]                  // 000000007580: D1000015 009A3D1C
	v_perm_b32 v25, v21, v20, s52                              // 000000007588: D1ED0019 00D22915
	ds_write_b64 v5, v[24:25] offset:3456                      // 000000007590: D89A0D80 00001805
	v_mov_b32_e32 v24, v90                                     // 000000007598: 7E30035A
	v_mov_b32_e32 v25, v94                                     // 00000000759C: 7E32035E
	v_mov_b32_e32 v26, v98                                     // 0000000075A0: 7E340362
	v_mov_b32_e32 v27, v102                                    // 0000000075A4: 7E360366
	v_cmp_u_f32_e64 s[38:39], v24, v24                         // 0000000075A8: D0480026 00023118
	v_add3_u32 v28, v24, v31, 1                                // 0000000075B0: D1FF001C 02063F18
	v_cndmask_b32_e64 v20, v28, v30, s[38:39]                  // 0000000075B8: D1000014 009A3D1C
	v_cmp_u_f32_e64 s[38:39], v25, v25                         // 0000000075C0: D0480026 00023319
	v_add3_u32 v28, v25, v31, 1                                // 0000000075C8: D1FF001C 02063F19
	v_cndmask_b32_e64 v21, v28, v30, s[38:39]                  // 0000000075D0: D1000015 009A3D1C
	v_perm_b32 v24, v21, v20, s52                              // 0000000075D8: D1ED0018 00D22915
	v_cmp_u_f32_e64 s[38:39], v26, v26                         // 0000000075E0: D0480026 0002351A
	v_add3_u32 v28, v26, v31, 1                                // 0000000075E8: D1FF001C 02063F1A
	v_cndmask_b32_e64 v20, v28, v30, s[38:39]                  // 0000000075F0: D1000014 009A3D1C
	v_cmp_u_f32_e64 s[38:39], v27, v27                         // 0000000075F8: D0480026 0002371B
	v_add3_u32 v28, v27, v31, 1                                // 000000007600: D1FF001C 02063F1B
	v_cndmask_b32_e64 v21, v28, v30, s[38:39]                  // 000000007608: D1000015 009A3D1C
	v_perm_b32 v25, v21, v20, s52                              // 000000007610: D1ED0019 00D22915
	ds_write_b64 v5, v[24:25] offset:2448                      // 000000007618: D89A0990 00001805
	v_mov_b32_e32 v24, v91                                     // 000000007620: 7E30035B
	v_mov_b32_e32 v25, v95                                     // 000000007624: 7E32035F
	v_mov_b32_e32 v26, v99                                     // 000000007628: 7E340363
	v_mov_b32_e32 v27, v103                                    // 00000000762C: 7E360367
	v_cmp_u_f32_e64 s[38:39], v24, v24                         // 000000007630: D0480026 00023118
	v_add3_u32 v28, v24, v31, 1                                // 000000007638: D1FF001C 02063F18
	v_cndmask_b32_e64 v20, v28, v30, s[38:39]                  // 000000007640: D1000014 009A3D1C
	v_cmp_u_f32_e64 s[38:39], v25, v25                         // 000000007648: D0480026 00023319
	v_add3_u32 v28, v25, v31, 1                                // 000000007650: D1FF001C 02063F19
	v_cndmask_b32_e64 v21, v28, v30, s[38:39]                  // 000000007658: D1000015 009A3D1C
	v_perm_b32 v24, v21, v20, s52                              // 000000007660: D1ED0018 00D22915
	v_cmp_u_f32_e64 s[38:39], v26, v26                         // 000000007668: D0480026 0002351A
	v_add3_u32 v28, v26, v31, 1                                // 000000007670: D1FF001C 02063F1A
	v_cndmask_b32_e64 v20, v28, v30, s[38:39]                  // 000000007678: D1000014 009A3D1C
	v_cmp_u_f32_e64 s[38:39], v27, v27                         // 000000007680: D0480026 0002371B
	v_add3_u32 v28, v27, v31, 1                                // 000000007688: D1FF001C 02063F1B
	v_cndmask_b32_e64 v21, v28, v30, s[38:39]                  // 000000007690: D1000015 009A3D1C
	v_perm_b32 v25, v21, v20, s52                              // 000000007698: D1ED0019 00D22915
	ds_write_b64 v5, v[24:25] offset:3600                      // 0000000076A0: D89A0E10 00001805
	s_waitcnt lgkmcnt(4)                                       // 0000000076A8: BF8CC47F
	ds_read_b64 v[40:41], v4                                   // 0000000076AC: D8EC0000 28000004
	ds_read_b64 v[44:45], v4 offset:64                         // 0000000076B4: D8EC0040 2C000004
	ds_read_b64 v[42:43], v4 offset:1152                       // 0000000076BC: D8EC0480 2A000004
	ds_read_b64 v[46:47], v4 offset:1216                       // 0000000076C4: D8EC04C0 2E000004
	s_waitcnt lgkmcnt(4)                                       // 0000000076CC: BF8CC47F
	ds_read_b64 v[48:49], v4 offset:2304                       // 0000000076D0: D8EC0900 30000004
	ds_read_b64 v[52:53], v4 offset:2368                       // 0000000076D8: D8EC0940 34000004
	ds_read_b64 v[50:51], v4 offset:3456                       // 0000000076E0: D8EC0D80 32000004
	ds_read_b64 v[54:55], v4 offset:3520                       // 0000000076E8: D8EC0DC0 36000004
	s_waitcnt lgkmcnt(0)                                       // 0000000076F0: BF8CC07F
	v_mov_b32_e32 v18, v19                                     // 0000000076F4: 7E240313
	buffer_store_dwordx4 v[40:43], v18, s[88:91], 0 offen offset:256// 0000000076F8: E07C1100 80162812
	buffer_store_dwordx4 v[48:51], v18, s[88:91], 0 offen offset:384// 000000007700: E07C1180 80163012
	v_add_u32_e32 v18, 0x2000, v18                             // 000000007708: 682424FF 00002000
	buffer_store_dwordx4 v[44:47], v18, s[88:91], 0 offen offset:256// 000000007710: E07C1100 80162C12
	buffer_store_dwordx4 v[52:55], v18, s[88:91], 0 offen offset:384// 000000007718: E07C1180 80163412
	v_add_u32_e32 v18, 0x2000, v18                             // 000000007720: 682424FF 00002000
	v_mov_b32_e32 v24, v104                                    // 000000007728: 7E300368
	v_mov_b32_e32 v25, v108                                    // 00000000772C: 7E32036C
	v_mov_b32_e32 v26, v112                                    // 000000007730: 7E340370
	v_mov_b32_e32 v27, v116                                    // 000000007734: 7E360374
	v_cmp_u_f32_e64 s[38:39], v24, v24                         // 000000007738: D0480026 00023118
	v_add3_u32 v28, v24, v31, 1                                // 000000007740: D1FF001C 02063F18
	v_cndmask_b32_e64 v20, v28, v30, s[38:39]                  // 000000007748: D1000014 009A3D1C
	v_cmp_u_f32_e64 s[38:39], v25, v25                         // 000000007750: D0480026 00023319
	v_add3_u32 v28, v25, v31, 1                                // 000000007758: D1FF001C 02063F19
	v_cndmask_b32_e64 v21, v28, v30, s[38:39]                  // 000000007760: D1000015 009A3D1C
	v_perm_b32 v24, v21, v20, s52                              // 000000007768: D1ED0018 00D22915
	v_cmp_u_f32_e64 s[38:39], v26, v26                         // 000000007770: D0480026 0002351A
	v_add3_u32 v28, v26, v31, 1                                // 000000007778: D1FF001C 02063F1A
	v_cndmask_b32_e64 v20, v28, v30, s[38:39]                  // 000000007780: D1000014 009A3D1C
	v_cmp_u_f32_e64 s[38:39], v27, v27                         // 000000007788: D0480026 0002371B
	v_add3_u32 v28, v27, v31, 1                                // 000000007790: D1FF001C 02063F1B
	v_cndmask_b32_e64 v21, v28, v30, s[38:39]                  // 000000007798: D1000015 009A3D1C
	v_perm_b32 v25, v21, v20, s52                              // 0000000077A0: D1ED0019 00D22915
	ds_write_b64 v5, v[24:25]                                  // 0000000077A8: D89A0000 00001805
	v_mov_b32_e32 v24, v105                                    // 0000000077B0: 7E300369
	v_mov_b32_e32 v25, v109                                    // 0000000077B4: 7E32036D
	v_mov_b32_e32 v26, v113                                    // 0000000077B8: 7E340371
	v_mov_b32_e32 v27, v117                                    // 0000000077BC: 7E360375
	v_cmp_u_f32_e64 s[38:39], v24, v24                         // 0000000077C0: D0480026 00023118
	v_add3_u32 v28, v24, v31, 1                                // 0000000077C8: D1FF001C 02063F18
	v_cndmask_b32_e64 v20, v28, v30, s[38:39]                  // 0000000077D0: D1000014 009A3D1C
	v_cmp_u_f32_e64 s[38:39], v25, v25                         // 0000000077D8: D0480026 00023319
	v_add3_u32 v28, v25, v31, 1                                // 0000000077E0: D1FF001C 02063F19
	v_cndmask_b32_e64 v21, v28, v30, s[38:39]                  // 0000000077E8: D1000015 009A3D1C
	v_perm_b32 v24, v21, v20, s52                              // 0000000077F0: D1ED0018 00D22915
	v_cmp_u_f32_e64 s[38:39], v26, v26                         // 0000000077F8: D0480026 0002351A
	v_add3_u32 v28, v26, v31, 1                                // 000000007800: D1FF001C 02063F1A
	v_cndmask_b32_e64 v20, v28, v30, s[38:39]                  // 000000007808: D1000014 009A3D1C
	v_cmp_u_f32_e64 s[38:39], v27, v27                         // 000000007810: D0480026 0002371B
	v_add3_u32 v28, v27, v31, 1                                // 000000007818: D1FF001C 02063F1B
	v_cndmask_b32_e64 v21, v28, v30, s[38:39]                  // 000000007820: D1000015 009A3D1C
	v_perm_b32 v25, v21, v20, s52                              // 000000007828: D1ED0019 00D22915
	ds_write_b64 v5, v[24:25] offset:1152                      // 000000007830: D89A0480 00001805
	v_mov_b32_e32 v24, v106                                    // 000000007838: 7E30036A
	v_mov_b32_e32 v25, v110                                    // 00000000783C: 7E32036E
	v_mov_b32_e32 v26, v114                                    // 000000007840: 7E340372
	v_mov_b32_e32 v27, v118                                    // 000000007844: 7E360376
	v_cmp_u_f32_e64 s[38:39], v24, v24                         // 000000007848: D0480026 00023118
	v_add3_u32 v28, v24, v31, 1                                // 000000007850: D1FF001C 02063F18
	v_cndmask_b32_e64 v20, v28, v30, s[38:39]                  // 000000007858: D1000014 009A3D1C
	v_cmp_u_f32_e64 s[38:39], v25, v25                         // 000000007860: D0480026 00023319
	v_add3_u32 v28, v25, v31, 1                                // 000000007868: D1FF001C 02063F19
	v_cndmask_b32_e64 v21, v28, v30, s[38:39]                  // 000000007870: D1000015 009A3D1C
	v_perm_b32 v24, v21, v20, s52                              // 000000007878: D1ED0018 00D22915
	v_cmp_u_f32_e64 s[38:39], v26, v26                         // 000000007880: D0480026 0002351A
	v_add3_u32 v28, v26, v31, 1                                // 000000007888: D1FF001C 02063F1A
	v_cndmask_b32_e64 v20, v28, v30, s[38:39]                  // 000000007890: D1000014 009A3D1C
	v_cmp_u_f32_e64 s[38:39], v27, v27                         // 000000007898: D0480026 0002371B
	v_add3_u32 v28, v27, v31, 1                                // 0000000078A0: D1FF001C 02063F1B
	v_cndmask_b32_e64 v21, v28, v30, s[38:39]                  // 0000000078A8: D1000015 009A3D1C
	v_perm_b32 v25, v21, v20, s52                              // 0000000078B0: D1ED0019 00D22915
	ds_write_b64 v5, v[24:25] offset:144                       // 0000000078B8: D89A0090 00001805
	v_mov_b32_e32 v24, v107                                    // 0000000078C0: 7E30036B
	v_mov_b32_e32 v25, v111                                    // 0000000078C4: 7E32036F
	v_mov_b32_e32 v26, v115                                    // 0000000078C8: 7E340373
	v_mov_b32_e32 v27, v119                                    // 0000000078CC: 7E360377
	v_cmp_u_f32_e64 s[38:39], v24, v24                         // 0000000078D0: D0480026 00023118
	v_add3_u32 v28, v24, v31, 1                                // 0000000078D8: D1FF001C 02063F18
	v_cndmask_b32_e64 v20, v28, v30, s[38:39]                  // 0000000078E0: D1000014 009A3D1C
	v_cmp_u_f32_e64 s[38:39], v25, v25                         // 0000000078E8: D0480026 00023319
	v_add3_u32 v28, v25, v31, 1                                // 0000000078F0: D1FF001C 02063F19
	v_cndmask_b32_e64 v21, v28, v30, s[38:39]                  // 0000000078F8: D1000015 009A3D1C
	v_perm_b32 v24, v21, v20, s52                              // 000000007900: D1ED0018 00D22915
	v_cmp_u_f32_e64 s[38:39], v26, v26                         // 000000007908: D0480026 0002351A
	v_add3_u32 v28, v26, v31, 1                                // 000000007910: D1FF001C 02063F1A
	v_cndmask_b32_e64 v20, v28, v30, s[38:39]                  // 000000007918: D1000014 009A3D1C
	v_cmp_u_f32_e64 s[38:39], v27, v27                         // 000000007920: D0480026 0002371B
	v_add3_u32 v28, v27, v31, 1                                // 000000007928: D1FF001C 02063F1B
	v_cndmask_b32_e64 v21, v28, v30, s[38:39]                  // 000000007930: D1000015 009A3D1C
	v_perm_b32 v25, v21, v20, s52                              // 000000007938: D1ED0019 00D22915
	ds_write_b64 v5, v[24:25] offset:1296                      // 000000007940: D89A0510 00001805
	v_mov_b32_e32 v24, v120                                    // 000000007948: 7E300378
	v_mov_b32_e32 v25, v124                                    // 00000000794C: 7E32037C
	v_mov_b32_e32 v26, v128                                    // 000000007950: 7E340380
	v_mov_b32_e32 v27, v132                                    // 000000007954: 7E360384
	v_cmp_u_f32_e64 s[38:39], v24, v24                         // 000000007958: D0480026 00023118
	v_add3_u32 v28, v24, v31, 1                                // 000000007960: D1FF001C 02063F18
	v_cndmask_b32_e64 v20, v28, v30, s[38:39]                  // 000000007968: D1000014 009A3D1C
	v_cmp_u_f32_e64 s[38:39], v25, v25                         // 000000007970: D0480026 00023319
	v_add3_u32 v28, v25, v31, 1                                // 000000007978: D1FF001C 02063F19
	v_cndmask_b32_e64 v21, v28, v30, s[38:39]                  // 000000007980: D1000015 009A3D1C
	v_perm_b32 v24, v21, v20, s52                              // 000000007988: D1ED0018 00D22915
	v_cmp_u_f32_e64 s[38:39], v26, v26                         // 000000007990: D0480026 0002351A
	v_add3_u32 v28, v26, v31, 1                                // 000000007998: D1FF001C 02063F1A
	v_cndmask_b32_e64 v20, v28, v30, s[38:39]                  // 0000000079A0: D1000014 009A3D1C
	v_cmp_u_f32_e64 s[38:39], v27, v27                         // 0000000079A8: D0480026 0002371B
	v_add3_u32 v28, v27, v31, 1                                // 0000000079B0: D1FF001C 02063F1B
	v_cndmask_b32_e64 v21, v28, v30, s[38:39]                  // 0000000079B8: D1000015 009A3D1C
	v_perm_b32 v25, v21, v20, s52                              // 0000000079C0: D1ED0019 00D22915
	ds_write_b64 v5, v[24:25] offset:2304                      // 0000000079C8: D89A0900 00001805
	v_mov_b32_e32 v24, v121                                    // 0000000079D0: 7E300379
	v_mov_b32_e32 v25, v125                                    // 0000000079D4: 7E32037D
	v_mov_b32_e32 v26, v129                                    // 0000000079D8: 7E340381
	v_mov_b32_e32 v27, v133                                    // 0000000079DC: 7E360385
	v_cmp_u_f32_e64 s[38:39], v24, v24                         // 0000000079E0: D0480026 00023118
	v_add3_u32 v28, v24, v31, 1                                // 0000000079E8: D1FF001C 02063F18
	v_cndmask_b32_e64 v20, v28, v30, s[38:39]                  // 0000000079F0: D1000014 009A3D1C
	v_cmp_u_f32_e64 s[38:39], v25, v25                         // 0000000079F8: D0480026 00023319
	v_add3_u32 v28, v25, v31, 1                                // 000000007A00: D1FF001C 02063F19
	v_cndmask_b32_e64 v21, v28, v30, s[38:39]                  // 000000007A08: D1000015 009A3D1C
	v_perm_b32 v24, v21, v20, s52                              // 000000007A10: D1ED0018 00D22915
	v_cmp_u_f32_e64 s[38:39], v26, v26                         // 000000007A18: D0480026 0002351A
	v_add3_u32 v28, v26, v31, 1                                // 000000007A20: D1FF001C 02063F1A
	v_cndmask_b32_e64 v20, v28, v30, s[38:39]                  // 000000007A28: D1000014 009A3D1C
	v_cmp_u_f32_e64 s[38:39], v27, v27                         // 000000007A30: D0480026 0002371B
	v_add3_u32 v28, v27, v31, 1                                // 000000007A38: D1FF001C 02063F1B
	v_cndmask_b32_e64 v21, v28, v30, s[38:39]                  // 000000007A40: D1000015 009A3D1C
	v_perm_b32 v25, v21, v20, s52                              // 000000007A48: D1ED0019 00D22915
	ds_write_b64 v5, v[24:25] offset:3456                      // 000000007A50: D89A0D80 00001805
	v_mov_b32_e32 v24, v122                                    // 000000007A58: 7E30037A
	v_mov_b32_e32 v25, v126                                    // 000000007A5C: 7E32037E
	v_mov_b32_e32 v26, v130                                    // 000000007A60: 7E340382
	v_mov_b32_e32 v27, v134                                    // 000000007A64: 7E360386
	v_cmp_u_f32_e64 s[38:39], v24, v24                         // 000000007A68: D0480026 00023118
	v_add3_u32 v28, v24, v31, 1                                // 000000007A70: D1FF001C 02063F18
	v_cndmask_b32_e64 v20, v28, v30, s[38:39]                  // 000000007A78: D1000014 009A3D1C
	v_cmp_u_f32_e64 s[38:39], v25, v25                         // 000000007A80: D0480026 00023319
	v_add3_u32 v28, v25, v31, 1                                // 000000007A88: D1FF001C 02063F19
	v_cndmask_b32_e64 v21, v28, v30, s[38:39]                  // 000000007A90: D1000015 009A3D1C
	v_perm_b32 v24, v21, v20, s52                              // 000000007A98: D1ED0018 00D22915
	v_cmp_u_f32_e64 s[38:39], v26, v26                         // 000000007AA0: D0480026 0002351A
	v_add3_u32 v28, v26, v31, 1                                // 000000007AA8: D1FF001C 02063F1A
	v_cndmask_b32_e64 v20, v28, v30, s[38:39]                  // 000000007AB0: D1000014 009A3D1C
	v_cmp_u_f32_e64 s[38:39], v27, v27                         // 000000007AB8: D0480026 0002371B
	v_add3_u32 v28, v27, v31, 1                                // 000000007AC0: D1FF001C 02063F1B
	v_cndmask_b32_e64 v21, v28, v30, s[38:39]                  // 000000007AC8: D1000015 009A3D1C
	v_perm_b32 v25, v21, v20, s52                              // 000000007AD0: D1ED0019 00D22915
	ds_write_b64 v5, v[24:25] offset:2448                      // 000000007AD8: D89A0990 00001805
	v_mov_b32_e32 v24, v123                                    // 000000007AE0: 7E30037B
	v_mov_b32_e32 v25, v127                                    // 000000007AE4: 7E32037F
	v_mov_b32_e32 v26, v131                                    // 000000007AE8: 7E340383
	v_mov_b32_e32 v27, v135                                    // 000000007AEC: 7E360387
	v_cmp_u_f32_e64 s[38:39], v24, v24                         // 000000007AF0: D0480026 00023118
	v_add3_u32 v28, v24, v31, 1                                // 000000007AF8: D1FF001C 02063F18
	v_cndmask_b32_e64 v20, v28, v30, s[38:39]                  // 000000007B00: D1000014 009A3D1C
	v_cmp_u_f32_e64 s[38:39], v25, v25                         // 000000007B08: D0480026 00023319
	v_add3_u32 v28, v25, v31, 1                                // 000000007B10: D1FF001C 02063F19
	v_cndmask_b32_e64 v21, v28, v30, s[38:39]                  // 000000007B18: D1000015 009A3D1C
	v_perm_b32 v24, v21, v20, s52                              // 000000007B20: D1ED0018 00D22915
	v_cmp_u_f32_e64 s[38:39], v26, v26                         // 000000007B28: D0480026 0002351A
	v_add3_u32 v28, v26, v31, 1                                // 000000007B30: D1FF001C 02063F1A
	v_cndmask_b32_e64 v20, v28, v30, s[38:39]                  // 000000007B38: D1000014 009A3D1C
	v_cmp_u_f32_e64 s[38:39], v27, v27                         // 000000007B40: D0480026 0002371B
	v_add3_u32 v28, v27, v31, 1                                // 000000007B48: D1FF001C 02063F1B
	v_cndmask_b32_e64 v21, v28, v30, s[38:39]                  // 000000007B50: D1000015 009A3D1C
	v_perm_b32 v25, v21, v20, s52                              // 000000007B58: D1ED0019 00D22915
	ds_write_b64 v5, v[24:25] offset:3600                      // 000000007B60: D89A0E10 00001805
	s_waitcnt lgkmcnt(4)                                       // 000000007B68: BF8CC47F
	ds_read_b64 v[40:41], v4                                   // 000000007B6C: D8EC0000 28000004
	ds_read_b64 v[44:45], v4 offset:64                         // 000000007B74: D8EC0040 2C000004
	ds_read_b64 v[42:43], v4 offset:1152                       // 000000007B7C: D8EC0480 2A000004
	ds_read_b64 v[46:47], v4 offset:1216                       // 000000007B84: D8EC04C0 2E000004
	s_waitcnt lgkmcnt(4)                                       // 000000007B8C: BF8CC47F
	ds_read_b64 v[48:49], v4 offset:2304                       // 000000007B90: D8EC0900 30000004
	ds_read_b64 v[52:53], v4 offset:2368                       // 000000007B98: D8EC0940 34000004
	ds_read_b64 v[50:51], v4 offset:3456                       // 000000007BA0: D8EC0D80 32000004
	ds_read_b64 v[54:55], v4 offset:3520                       // 000000007BA8: D8EC0DC0 36000004
	s_waitcnt lgkmcnt(0)                                       // 000000007BB0: BF8CC07F
	v_mov_b32_e32 v18, v19                                     // 000000007BB4: 7E240313
	buffer_store_dwordx4 v[40:43], v18, s[88:91], 0 offen offset:512// 000000007BB8: E07C1200 80162812
	buffer_store_dwordx4 v[48:51], v18, s[88:91], 0 offen offset:640// 000000007BC0: E07C1280 80163012
	v_add_u32_e32 v18, 0x2000, v18                             // 000000007BC8: 682424FF 00002000
	buffer_store_dwordx4 v[44:47], v18, s[88:91], 0 offen offset:512// 000000007BD0: E07C1200 80162C12
	buffer_store_dwordx4 v[52:55], v18, s[88:91], 0 offen offset:640// 000000007BD8: E07C1280 80163412
	v_add_u32_e32 v18, 0x2000, v18                             // 000000007BE0: 682424FF 00002000
	v_mov_b32_e32 v24, v136                                    // 000000007BE8: 7E300388
	v_mov_b32_e32 v25, v140                                    // 000000007BEC: 7E32038C
	v_mov_b32_e32 v26, v144                                    // 000000007BF0: 7E340390
	v_mov_b32_e32 v27, v148                                    // 000000007BF4: 7E360394
	v_cmp_u_f32_e64 s[38:39], v24, v24                         // 000000007BF8: D0480026 00023118
	v_add3_u32 v28, v24, v31, 1                                // 000000007C00: D1FF001C 02063F18
	v_cndmask_b32_e64 v20, v28, v30, s[38:39]                  // 000000007C08: D1000014 009A3D1C
	v_cmp_u_f32_e64 s[38:39], v25, v25                         // 000000007C10: D0480026 00023319
	v_add3_u32 v28, v25, v31, 1                                // 000000007C18: D1FF001C 02063F19
	v_cndmask_b32_e64 v21, v28, v30, s[38:39]                  // 000000007C20: D1000015 009A3D1C
	v_perm_b32 v24, v21, v20, s52                              // 000000007C28: D1ED0018 00D22915
	v_cmp_u_f32_e64 s[38:39], v26, v26                         // 000000007C30: D0480026 0002351A
	v_add3_u32 v28, v26, v31, 1                                // 000000007C38: D1FF001C 02063F1A
	v_cndmask_b32_e64 v20, v28, v30, s[38:39]                  // 000000007C40: D1000014 009A3D1C
	v_cmp_u_f32_e64 s[38:39], v27, v27                         // 000000007C48: D0480026 0002371B
	v_add3_u32 v28, v27, v31, 1                                // 000000007C50: D1FF001C 02063F1B
	v_cndmask_b32_e64 v21, v28, v30, s[38:39]                  // 000000007C58: D1000015 009A3D1C
	v_perm_b32 v25, v21, v20, s52                              // 000000007C60: D1ED0019 00D22915
	ds_write_b64 v5, v[24:25]                                  // 000000007C68: D89A0000 00001805
	v_mov_b32_e32 v24, v137                                    // 000000007C70: 7E300389
	v_mov_b32_e32 v25, v141                                    // 000000007C74: 7E32038D
	v_mov_b32_e32 v26, v145                                    // 000000007C78: 7E340391
	v_mov_b32_e32 v27, v149                                    // 000000007C7C: 7E360395
	v_cmp_u_f32_e64 s[38:39], v24, v24                         // 000000007C80: D0480026 00023118
	v_add3_u32 v28, v24, v31, 1                                // 000000007C88: D1FF001C 02063F18
	v_cndmask_b32_e64 v20, v28, v30, s[38:39]                  // 000000007C90: D1000014 009A3D1C
	v_cmp_u_f32_e64 s[38:39], v25, v25                         // 000000007C98: D0480026 00023319
	v_add3_u32 v28, v25, v31, 1                                // 000000007CA0: D1FF001C 02063F19
	v_cndmask_b32_e64 v21, v28, v30, s[38:39]                  // 000000007CA8: D1000015 009A3D1C
	v_perm_b32 v24, v21, v20, s52                              // 000000007CB0: D1ED0018 00D22915
	v_cmp_u_f32_e64 s[38:39], v26, v26                         // 000000007CB8: D0480026 0002351A
	v_add3_u32 v28, v26, v31, 1                                // 000000007CC0: D1FF001C 02063F1A
	v_cndmask_b32_e64 v20, v28, v30, s[38:39]                  // 000000007CC8: D1000014 009A3D1C
	v_cmp_u_f32_e64 s[38:39], v27, v27                         // 000000007CD0: D0480026 0002371B
	v_add3_u32 v28, v27, v31, 1                                // 000000007CD8: D1FF001C 02063F1B
	v_cndmask_b32_e64 v21, v28, v30, s[38:39]                  // 000000007CE0: D1000015 009A3D1C
	v_perm_b32 v25, v21, v20, s52                              // 000000007CE8: D1ED0019 00D22915
	ds_write_b64 v5, v[24:25] offset:1152                      // 000000007CF0: D89A0480 00001805
	v_mov_b32_e32 v24, v138                                    // 000000007CF8: 7E30038A
	v_mov_b32_e32 v25, v142                                    // 000000007CFC: 7E32038E
	v_mov_b32_e32 v26, v146                                    // 000000007D00: 7E340392
	v_mov_b32_e32 v27, v150                                    // 000000007D04: 7E360396
	v_cmp_u_f32_e64 s[38:39], v24, v24                         // 000000007D08: D0480026 00023118
	v_add3_u32 v28, v24, v31, 1                                // 000000007D10: D1FF001C 02063F18
	v_cndmask_b32_e64 v20, v28, v30, s[38:39]                  // 000000007D18: D1000014 009A3D1C
	v_cmp_u_f32_e64 s[38:39], v25, v25                         // 000000007D20: D0480026 00023319
	v_add3_u32 v28, v25, v31, 1                                // 000000007D28: D1FF001C 02063F19
	v_cndmask_b32_e64 v21, v28, v30, s[38:39]                  // 000000007D30: D1000015 009A3D1C
	v_perm_b32 v24, v21, v20, s52                              // 000000007D38: D1ED0018 00D22915
	v_cmp_u_f32_e64 s[38:39], v26, v26                         // 000000007D40: D0480026 0002351A
	v_add3_u32 v28, v26, v31, 1                                // 000000007D48: D1FF001C 02063F1A
	v_cndmask_b32_e64 v20, v28, v30, s[38:39]                  // 000000007D50: D1000014 009A3D1C
	v_cmp_u_f32_e64 s[38:39], v27, v27                         // 000000007D58: D0480026 0002371B
	v_add3_u32 v28, v27, v31, 1                                // 000000007D60: D1FF001C 02063F1B
	v_cndmask_b32_e64 v21, v28, v30, s[38:39]                  // 000000007D68: D1000015 009A3D1C
	v_perm_b32 v25, v21, v20, s52                              // 000000007D70: D1ED0019 00D22915
	ds_write_b64 v5, v[24:25] offset:144                       // 000000007D78: D89A0090 00001805
	v_mov_b32_e32 v24, v139                                    // 000000007D80: 7E30038B
	v_mov_b32_e32 v25, v143                                    // 000000007D84: 7E32038F
	v_mov_b32_e32 v26, v147                                    // 000000007D88: 7E340393
	v_mov_b32_e32 v27, v151                                    // 000000007D8C: 7E360397
	v_cmp_u_f32_e64 s[38:39], v24, v24                         // 000000007D90: D0480026 00023118
	v_add3_u32 v28, v24, v31, 1                                // 000000007D98: D1FF001C 02063F18
	v_cndmask_b32_e64 v20, v28, v30, s[38:39]                  // 000000007DA0: D1000014 009A3D1C
	v_cmp_u_f32_e64 s[38:39], v25, v25                         // 000000007DA8: D0480026 00023319
	v_add3_u32 v28, v25, v31, 1                                // 000000007DB0: D1FF001C 02063F19
	v_cndmask_b32_e64 v21, v28, v30, s[38:39]                  // 000000007DB8: D1000015 009A3D1C
	v_perm_b32 v24, v21, v20, s52                              // 000000007DC0: D1ED0018 00D22915
	v_cmp_u_f32_e64 s[38:39], v26, v26                         // 000000007DC8: D0480026 0002351A
	v_add3_u32 v28, v26, v31, 1                                // 000000007DD0: D1FF001C 02063F1A
	v_cndmask_b32_e64 v20, v28, v30, s[38:39]                  // 000000007DD8: D1000014 009A3D1C
	v_cmp_u_f32_e64 s[38:39], v27, v27                         // 000000007DE0: D0480026 0002371B
	v_add3_u32 v28, v27, v31, 1                                // 000000007DE8: D1FF001C 02063F1B
	v_cndmask_b32_e64 v21, v28, v30, s[38:39]                  // 000000007DF0: D1000015 009A3D1C
	v_perm_b32 v25, v21, v20, s52                              // 000000007DF8: D1ED0019 00D22915
	ds_write_b64 v5, v[24:25] offset:1296                      // 000000007E00: D89A0510 00001805
	v_mov_b32_e32 v24, v152                                    // 000000007E08: 7E300398
	v_mov_b32_e32 v25, v156                                    // 000000007E0C: 7E32039C
	v_mov_b32_e32 v26, v160                                    // 000000007E10: 7E3403A0
	v_mov_b32_e32 v27, v164                                    // 000000007E14: 7E3603A4
	v_cmp_u_f32_e64 s[38:39], v24, v24                         // 000000007E18: D0480026 00023118
	v_add3_u32 v28, v24, v31, 1                                // 000000007E20: D1FF001C 02063F18
	v_cndmask_b32_e64 v20, v28, v30, s[38:39]                  // 000000007E28: D1000014 009A3D1C
	v_cmp_u_f32_e64 s[38:39], v25, v25                         // 000000007E30: D0480026 00023319
	v_add3_u32 v28, v25, v31, 1                                // 000000007E38: D1FF001C 02063F19
	v_cndmask_b32_e64 v21, v28, v30, s[38:39]                  // 000000007E40: D1000015 009A3D1C
	v_perm_b32 v24, v21, v20, s52                              // 000000007E48: D1ED0018 00D22915
	v_cmp_u_f32_e64 s[38:39], v26, v26                         // 000000007E50: D0480026 0002351A
	v_add3_u32 v28, v26, v31, 1                                // 000000007E58: D1FF001C 02063F1A
	v_cndmask_b32_e64 v20, v28, v30, s[38:39]                  // 000000007E60: D1000014 009A3D1C
	v_cmp_u_f32_e64 s[38:39], v27, v27                         // 000000007E68: D0480026 0002371B
	v_add3_u32 v28, v27, v31, 1                                // 000000007E70: D1FF001C 02063F1B
	v_cndmask_b32_e64 v21, v28, v30, s[38:39]                  // 000000007E78: D1000015 009A3D1C
	v_perm_b32 v25, v21, v20, s52                              // 000000007E80: D1ED0019 00D22915
	ds_write_b64 v5, v[24:25] offset:2304                      // 000000007E88: D89A0900 00001805
	v_mov_b32_e32 v24, v153                                    // 000000007E90: 7E300399
	v_mov_b32_e32 v25, v157                                    // 000000007E94: 7E32039D
	v_mov_b32_e32 v26, v161                                    // 000000007E98: 7E3403A1
	v_mov_b32_e32 v27, v165                                    // 000000007E9C: 7E3603A5
	v_cmp_u_f32_e64 s[38:39], v24, v24                         // 000000007EA0: D0480026 00023118
	v_add3_u32 v28, v24, v31, 1                                // 000000007EA8: D1FF001C 02063F18
	v_cndmask_b32_e64 v20, v28, v30, s[38:39]                  // 000000007EB0: D1000014 009A3D1C
	v_cmp_u_f32_e64 s[38:39], v25, v25                         // 000000007EB8: D0480026 00023319
	v_add3_u32 v28, v25, v31, 1                                // 000000007EC0: D1FF001C 02063F19
	v_cndmask_b32_e64 v21, v28, v30, s[38:39]                  // 000000007EC8: D1000015 009A3D1C
	v_perm_b32 v24, v21, v20, s52                              // 000000007ED0: D1ED0018 00D22915
	v_cmp_u_f32_e64 s[38:39], v26, v26                         // 000000007ED8: D0480026 0002351A
	v_add3_u32 v28, v26, v31, 1                                // 000000007EE0: D1FF001C 02063F1A
	v_cndmask_b32_e64 v20, v28, v30, s[38:39]                  // 000000007EE8: D1000014 009A3D1C
	v_cmp_u_f32_e64 s[38:39], v27, v27                         // 000000007EF0: D0480026 0002371B
	v_add3_u32 v28, v27, v31, 1                                // 000000007EF8: D1FF001C 02063F1B
	v_cndmask_b32_e64 v21, v28, v30, s[38:39]                  // 000000007F00: D1000015 009A3D1C
	v_perm_b32 v25, v21, v20, s52                              // 000000007F08: D1ED0019 00D22915
	ds_write_b64 v5, v[24:25] offset:3456                      // 000000007F10: D89A0D80 00001805
	v_mov_b32_e32 v24, v154                                    // 000000007F18: 7E30039A
	v_mov_b32_e32 v25, v158                                    // 000000007F1C: 7E32039E
	v_mov_b32_e32 v26, v162                                    // 000000007F20: 7E3403A2
	v_mov_b32_e32 v27, v166                                    // 000000007F24: 7E3603A6
	v_cmp_u_f32_e64 s[38:39], v24, v24                         // 000000007F28: D0480026 00023118
	v_add3_u32 v28, v24, v31, 1                                // 000000007F30: D1FF001C 02063F18
	v_cndmask_b32_e64 v20, v28, v30, s[38:39]                  // 000000007F38: D1000014 009A3D1C
	v_cmp_u_f32_e64 s[38:39], v25, v25                         // 000000007F40: D0480026 00023319
	v_add3_u32 v28, v25, v31, 1                                // 000000007F48: D1FF001C 02063F19
	v_cndmask_b32_e64 v21, v28, v30, s[38:39]                  // 000000007F50: D1000015 009A3D1C
	v_perm_b32 v24, v21, v20, s52                              // 000000007F58: D1ED0018 00D22915
	v_cmp_u_f32_e64 s[38:39], v26, v26                         // 000000007F60: D0480026 0002351A
	v_add3_u32 v28, v26, v31, 1                                // 000000007F68: D1FF001C 02063F1A
	v_cndmask_b32_e64 v20, v28, v30, s[38:39]                  // 000000007F70: D1000014 009A3D1C
	v_cmp_u_f32_e64 s[38:39], v27, v27                         // 000000007F78: D0480026 0002371B
	v_add3_u32 v28, v27, v31, 1                                // 000000007F80: D1FF001C 02063F1B
	v_cndmask_b32_e64 v21, v28, v30, s[38:39]                  // 000000007F88: D1000015 009A3D1C
	v_perm_b32 v25, v21, v20, s52                              // 000000007F90: D1ED0019 00D22915
	ds_write_b64 v5, v[24:25] offset:2448                      // 000000007F98: D89A0990 00001805
	v_mov_b32_e32 v24, v155                                    // 000000007FA0: 7E30039B
	v_mov_b32_e32 v25, v159                                    // 000000007FA4: 7E32039F
	v_mov_b32_e32 v26, v163                                    // 000000007FA8: 7E3403A3
	v_mov_b32_e32 v27, v167                                    // 000000007FAC: 7E3603A7
	v_cmp_u_f32_e64 s[38:39], v24, v24                         // 000000007FB0: D0480026 00023118
	v_add3_u32 v28, v24, v31, 1                                // 000000007FB8: D1FF001C 02063F18
	v_cndmask_b32_e64 v20, v28, v30, s[38:39]                  // 000000007FC0: D1000014 009A3D1C
	v_cmp_u_f32_e64 s[38:39], v25, v25                         // 000000007FC8: D0480026 00023319
	v_add3_u32 v28, v25, v31, 1                                // 000000007FD0: D1FF001C 02063F19
	v_cndmask_b32_e64 v21, v28, v30, s[38:39]                  // 000000007FD8: D1000015 009A3D1C
	v_perm_b32 v24, v21, v20, s52                              // 000000007FE0: D1ED0018 00D22915
	v_cmp_u_f32_e64 s[38:39], v26, v26                         // 000000007FE8: D0480026 0002351A
	v_add3_u32 v28, v26, v31, 1                                // 000000007FF0: D1FF001C 02063F1A
	v_cndmask_b32_e64 v20, v28, v30, s[38:39]                  // 000000007FF8: D1000014 009A3D1C
	v_cmp_u_f32_e64 s[38:39], v27, v27                         // 000000008000: D0480026 0002371B
	v_add3_u32 v28, v27, v31, 1                                // 000000008008: D1FF001C 02063F1B
	v_cndmask_b32_e64 v21, v28, v30, s[38:39]                  // 000000008010: D1000015 009A3D1C
	v_perm_b32 v25, v21, v20, s52                              // 000000008018: D1ED0019 00D22915
	ds_write_b64 v5, v[24:25] offset:3600                      // 000000008020: D89A0E10 00001805
	s_waitcnt lgkmcnt(4)                                       // 000000008028: BF8CC47F
	ds_read_b64 v[40:41], v4                                   // 00000000802C: D8EC0000 28000004
	ds_read_b64 v[44:45], v4 offset:64                         // 000000008034: D8EC0040 2C000004
	ds_read_b64 v[42:43], v4 offset:1152                       // 00000000803C: D8EC0480 2A000004
	ds_read_b64 v[46:47], v4 offset:1216                       // 000000008044: D8EC04C0 2E000004
	s_waitcnt lgkmcnt(4)                                       // 00000000804C: BF8CC47F
	ds_read_b64 v[48:49], v4 offset:2304                       // 000000008050: D8EC0900 30000004
	ds_read_b64 v[52:53], v4 offset:2368                       // 000000008058: D8EC0940 34000004
	ds_read_b64 v[50:51], v4 offset:3456                       // 000000008060: D8EC0D80 32000004
	ds_read_b64 v[54:55], v4 offset:3520                       // 000000008068: D8EC0DC0 36000004
	s_waitcnt lgkmcnt(0)                                       // 000000008070: BF8CC07F
	v_mov_b32_e32 v18, v19                                     // 000000008074: 7E240313
	buffer_store_dwordx4 v[40:43], v18, s[88:91], 0 offen offset:768// 000000008078: E07C1300 80162812
	buffer_store_dwordx4 v[48:51], v18, s[88:91], 0 offen offset:896// 000000008080: E07C1380 80163012
	v_add_u32_e32 v18, 0x2000, v18                             // 000000008088: 682424FF 00002000
	buffer_store_dwordx4 v[44:47], v18, s[88:91], 0 offen offset:768// 000000008090: E07C1300 80162C12
	buffer_store_dwordx4 v[52:55], v18, s[88:91], 0 offen offset:896// 000000008098: E07C1380 80163412
	v_add_u32_e32 v18, 0x2000, v18                             // 0000000080A0: 682424FF 00002000
	s_branch label_1959                                        // 0000000080A8: BF8201AE

00000000000080ac <label_17AB>:
	s_mov_b32 s75, 0x8000                                      // 0000000080AC: BECB00FF 00008000
	s_mul_i32 s76, s87, s75                                    // 0000000080B4: 924C4B57
	s_mov_b32 s56, s76                                         // 0000000080B8: BEB8004C
	s_add_u32 s8, s56, s8                                      // 0000000080BC: 80080838
	s_addc_u32 s9, 0, s9                                       // 0000000080C0: 82090980
	s_sub_u32 s56, s81, s80                                    // 0000000080C4: 80B85051
	s_mul_i32 s56, s56, s75                                    // 0000000080C8: 92384B38
	s_mov_b32 s10, s56                                         // 0000000080CC: BE8A0038
	v_and_b32_e32 v20, 15, v0                                  // 0000000080D0: 2628008F
	v_lshlrev_b32_e32 v18, 4, v20                              // 0000000080D4: 24242884
	v_lshrrev_b32_e32 v20, 4, v0                               // 0000000080D8: 20280084
	v_mul_i32_i24_e32 v20, 0x800, v20                          // 0000000080DC: 0C2828FF 00000800
	v_add_u32_e32 v18, v18, v20                                // 0000000080E4: 68242912
	s_mul_i32 s56, s7, s75                                     // 0000000080E8: 92384B07
	v_add_u32_e64 v18, v18, s56                                // 0000000080EC: D1340012 00007112
	v_mov_b32_e32 v19, v18                                     // 0000000080F4: 7E260312
	s_mov_b32 s58, 64                                          // 0000000080F8: BEBA00C0
	s_mul_i32 s56, s58, s87                                    // 0000000080FC: 9238573A
	s_add_u32 s12, s56, s12                                    // 000000008100: 800C0C38
	s_addc_u32 s13, 0, s13                                     // 000000008104: 820D0D80
	s_sub_u32 s56, s81, s80                                    // 000000008108: 80B85051
	s_mul_i32 s56, s56, s58                                    // 00000000810C: 92383A38
	s_mov_b32 s14, s56                                         // 000000008110: BE8E0038
	v_and_b32_e32 v26, 15, v0                                  // 000000008114: 2634008F
	v_lshlrev_b32_e32 v26, 2, v26                              // 000000008118: 24343482
	s_mul_i32 s56, s7, s57                                     // 00000000811C: 92383907
	s_mul_i32 s57, s58, s7                                     // 000000008120: 9239073A
	v_add_u32_e64 v26, v26, s57                                // 000000008124: D134001A 0000731A
	s_waitcnt vmcnt(0) lgkmcnt(0)                              // 00000000812C: BF8C0070
	s_barrier                                                  // 000000008130: BF8A0000
	v_lshlrev_b32_e32 v5, 2, v0                                // 000000008134: 240A0082
	s_mul_i32 s56, s7, 0x840                                   // 000000008138: 9238FF07 00000840
	v_add_u32_e32 v5, s56, v5                                  // 000000008140: 680A0A38
	v_lshlrev_b32_e32 v5, 2, v5                                // 000000008144: 240A0A82
	v_lshrrev_b32_e32 v20, 4, v0                               // 000000008148: 20280084
	v_mul_i32_i24_e32 v4, 4, v20                               // 00000000814C: 0C082884
	v_and_b32_e32 v20, 3, v0                                   // 000000008150: 26280083
	v_mul_i32_i24_e32 v20, 0x108, v20                          // 000000008154: 0C2828FF 00000108
	v_add_u32_e32 v4, v20, v4                                  // 00000000815C: 68080914
	v_and_b32_e32 v20, 15, v0                                  // 000000008160: 2628008F
	v_lshrrev_b32_e32 v20, 2, v20                              // 000000008164: 20282882
	v_mul_i32_i24_e32 v20, 64, v20                             // 000000008168: 0C2828C0
	v_add_u32_e32 v4, v20, v4                                  // 00000000816C: 68080914
	s_mul_i32 s56, s7, 0x840                                   // 000000008170: 9238FF07 00000840
	v_add_u32_e32 v4, s56, v4                                  // 000000008178: 68080838
	v_lshlrev_b32_e32 v4, 2, v4                                // 00000000817C: 24080882
	s_mul_i32 s56, 0, s76                                      // 000000008180: 92384C80
	v_add_u32_e64 v19, v19, s56                                // 000000008184: D1340013 00007113
	v_mov_b32_e32 v20, v40                                     // 00000000818C: 7E280328
	v_mov_b32_e32 v21, v44                                     // 000000008190: 7E2A032C
	v_mov_b32_e32 v22, v48                                     // 000000008194: 7E2C0330
	v_mov_b32_e32 v23, v52                                     // 000000008198: 7E2E0334
	ds_write_b128 v5, v[20:23]                                 // 00000000819C: D9BE0000 00001405
	v_mov_b32_e32 v20, v41                                     // 0000000081A4: 7E280329
	v_mov_b32_e32 v21, v45                                     // 0000000081A8: 7E2A032D
	v_mov_b32_e32 v22, v49                                     // 0000000081AC: 7E2C0331
	v_mov_b32_e32 v23, v53                                     // 0000000081B0: 7E2E0335
	ds_write_b128 v5, v[20:23] offset:1056                     // 0000000081B4: D9BE0420 00001405
	v_mov_b32_e32 v20, v42                                     // 0000000081BC: 7E28032A
	v_mov_b32_e32 v21, v46                                     // 0000000081C0: 7E2A032E
	v_mov_b32_e32 v22, v50                                     // 0000000081C4: 7E2C0332
	v_mov_b32_e32 v23, v54                                     // 0000000081C8: 7E2E0336
	ds_write_b128 v5, v[20:23] offset:2112                     // 0000000081CC: D9BE0840 00001405
	v_mov_b32_e32 v20, v43                                     // 0000000081D4: 7E28032B
	v_mov_b32_e32 v21, v47                                     // 0000000081D8: 7E2A032F
	v_mov_b32_e32 v22, v51                                     // 0000000081DC: 7E2C0333
	v_mov_b32_e32 v23, v55                                     // 0000000081E0: 7E2E0337
	ds_write_b128 v5, v[20:23] offset:3168                     // 0000000081E4: D9BE0C60 00001405
	v_mov_b32_e32 v20, v56                                     // 0000000081EC: 7E280338
	v_mov_b32_e32 v21, v60                                     // 0000000081F0: 7E2A033C
	v_mov_b32_e32 v22, v64                                     // 0000000081F4: 7E2C0340
	v_mov_b32_e32 v23, v68                                     // 0000000081F8: 7E2E0344
	ds_write_b128 v5, v[20:23] offset:4224                     // 0000000081FC: D9BE1080 00001405
	v_mov_b32_e32 v20, v57                                     // 000000008204: 7E280339
	v_mov_b32_e32 v21, v61                                     // 000000008208: 7E2A033D
	v_mov_b32_e32 v22, v65                                     // 00000000820C: 7E2C0341
	v_mov_b32_e32 v23, v69                                     // 000000008210: 7E2E0345
	ds_write_b128 v5, v[20:23] offset:5280                     // 000000008214: D9BE14A0 00001405
	v_mov_b32_e32 v20, v58                                     // 00000000821C: 7E28033A
	v_mov_b32_e32 v21, v62                                     // 000000008220: 7E2A033E
	v_mov_b32_e32 v22, v66                                     // 000000008224: 7E2C0342
	v_mov_b32_e32 v23, v70                                     // 000000008228: 7E2E0346
	ds_write_b128 v5, v[20:23] offset:6336                     // 00000000822C: D9BE18C0 00001405
	v_mov_b32_e32 v20, v59                                     // 000000008234: 7E28033B
	v_mov_b32_e32 v21, v63                                     // 000000008238: 7E2A033F
	v_mov_b32_e32 v22, v67                                     // 00000000823C: 7E2C0343
	v_mov_b32_e32 v23, v71                                     // 000000008240: 7E2E0347
	ds_write_b128 v5, v[20:23] offset:7392                     // 000000008244: D9BE1CE0 00001405
	s_waitcnt lgkmcnt(4)                                       // 00000000824C: BF8CC47F
	ds_read_b128 v[40:43], v4                                  // 000000008250: D9FE0000 28000004
	ds_read_b128 v[44:47], v4 offset:64                        // 000000008258: D9FE0040 2C000004
	ds_read_b128 v[48:51], v4 offset:128                       // 000000008260: D9FE0080 30000004
	ds_read_b128 v[52:55], v4 offset:192                       // 000000008268: D9FE00C0 34000004
	s_waitcnt lgkmcnt(4)                                       // 000000008270: BF8CC47F
	ds_read_b128 v[56:59], v4 offset:4224                      // 000000008274: D9FE1080 38000004
	ds_read_b128 v[60:63], v4 offset:4288                      // 00000000827C: D9FE10C0 3C000004
	ds_read_b128 v[64:67], v4 offset:4352                      // 000000008284: D9FE1100 40000004
	ds_read_b128 v[68:71], v4 offset:4416                      // 00000000828C: D9FE1140 44000004
	s_waitcnt lgkmcnt(0)                                       // 000000008294: BF8CC07F
	v_mov_b32_e32 v18, v19                                     // 000000008298: 7E240313
	buffer_store_dwordx4 v[40:43], v18, s[8:11], 0 offen       // 00000000829C: E07C1000 80022812
	buffer_store_dwordx4 v[56:59], v18, s[8:11], 0 offen offset:256// 0000000082A4: E07C1100 80023812
	v_add_u32_e32 v18, 0x2000, v18                             // 0000000082AC: 682424FF 00002000
	buffer_store_dwordx4 v[44:47], v18, s[8:11], 0 offen       // 0000000082B4: E07C1000 80022C12
	buffer_store_dwordx4 v[60:63], v18, s[8:11], 0 offen offset:256// 0000000082BC: E07C1100 80023C12
	v_add_u32_e32 v18, 0x2000, v18                             // 0000000082C4: 682424FF 00002000
	buffer_store_dwordx4 v[48:51], v18, s[8:11], 0 offen       // 0000000082CC: E07C1000 80023012
	buffer_store_dwordx4 v[64:67], v18, s[8:11], 0 offen offset:256// 0000000082D4: E07C1100 80024012
	v_add_u32_e32 v18, 0x2000, v18                             // 0000000082DC: 682424FF 00002000
	buffer_store_dwordx4 v[52:55], v18, s[8:11], 0 offen       // 0000000082E4: E07C1000 80023412
	buffer_store_dwordx4 v[68:71], v18, s[8:11], 0 offen offset:256// 0000000082EC: E07C1100 80024412
	v_add_u32_e32 v18, 0x2000, v18                             // 0000000082F4: 682424FF 00002000
	v_mov_b32_e32 v20, v72                                     // 0000000082FC: 7E280348
	v_mov_b32_e32 v21, v76                                     // 000000008300: 7E2A034C
	v_mov_b32_e32 v22, v80                                     // 000000008304: 7E2C0350
	v_mov_b32_e32 v23, v84                                     // 000000008308: 7E2E0354
	ds_write_b128 v5, v[20:23]                                 // 00000000830C: D9BE0000 00001405
	v_mov_b32_e32 v20, v73                                     // 000000008314: 7E280349
	v_mov_b32_e32 v21, v77                                     // 000000008318: 7E2A034D
	v_mov_b32_e32 v22, v81                                     // 00000000831C: 7E2C0351
	v_mov_b32_e32 v23, v85                                     // 000000008320: 7E2E0355
	ds_write_b128 v5, v[20:23] offset:1056                     // 000000008324: D9BE0420 00001405
	v_mov_b32_e32 v20, v74                                     // 00000000832C: 7E28034A
	v_mov_b32_e32 v21, v78                                     // 000000008330: 7E2A034E
	v_mov_b32_e32 v22, v82                                     // 000000008334: 7E2C0352
	v_mov_b32_e32 v23, v86                                     // 000000008338: 7E2E0356
	ds_write_b128 v5, v[20:23] offset:2112                     // 00000000833C: D9BE0840 00001405
	v_mov_b32_e32 v20, v75                                     // 000000008344: 7E28034B
	v_mov_b32_e32 v21, v79                                     // 000000008348: 7E2A034F
	v_mov_b32_e32 v22, v83                                     // 00000000834C: 7E2C0353
	v_mov_b32_e32 v23, v87                                     // 000000008350: 7E2E0357
	ds_write_b128 v5, v[20:23] offset:3168                     // 000000008354: D9BE0C60 00001405
	v_mov_b32_e32 v20, v88                                     // 00000000835C: 7E280358
	v_mov_b32_e32 v21, v92                                     // 000000008360: 7E2A035C
	v_mov_b32_e32 v22, v96                                     // 000000008364: 7E2C0360
	v_mov_b32_e32 v23, v100                                    // 000000008368: 7E2E0364
	ds_write_b128 v5, v[20:23] offset:4224                     // 00000000836C: D9BE1080 00001405
	v_mov_b32_e32 v20, v89                                     // 000000008374: 7E280359
	v_mov_b32_e32 v21, v93                                     // 000000008378: 7E2A035D
	v_mov_b32_e32 v22, v97                                     // 00000000837C: 7E2C0361
	v_mov_b32_e32 v23, v101                                    // 000000008380: 7E2E0365
	ds_write_b128 v5, v[20:23] offset:5280                     // 000000008384: D9BE14A0 00001405
	v_mov_b32_e32 v20, v90                                     // 00000000838C: 7E28035A
	v_mov_b32_e32 v21, v94                                     // 000000008390: 7E2A035E
	v_mov_b32_e32 v22, v98                                     // 000000008394: 7E2C0362
	v_mov_b32_e32 v23, v102                                    // 000000008398: 7E2E0366
	ds_write_b128 v5, v[20:23] offset:6336                     // 00000000839C: D9BE18C0 00001405
	v_mov_b32_e32 v20, v91                                     // 0000000083A4: 7E28035B
	v_mov_b32_e32 v21, v95                                     // 0000000083A8: 7E2A035F
	v_mov_b32_e32 v22, v99                                     // 0000000083AC: 7E2C0363
	v_mov_b32_e32 v23, v103                                    // 0000000083B0: 7E2E0367
	ds_write_b128 v5, v[20:23] offset:7392                     // 0000000083B4: D9BE1CE0 00001405
	s_waitcnt lgkmcnt(4)                                       // 0000000083BC: BF8CC47F
	ds_read_b128 v[40:43], v4                                  // 0000000083C0: D9FE0000 28000004
	ds_read_b128 v[44:47], v4 offset:64                        // 0000000083C8: D9FE0040 2C000004
	ds_read_b128 v[48:51], v4 offset:128                       // 0000000083D0: D9FE0080 30000004
	ds_read_b128 v[52:55], v4 offset:192                       // 0000000083D8: D9FE00C0 34000004
	s_waitcnt lgkmcnt(4)                                       // 0000000083E0: BF8CC47F
	ds_read_b128 v[56:59], v4 offset:4224                      // 0000000083E4: D9FE1080 38000004
	ds_read_b128 v[60:63], v4 offset:4288                      // 0000000083EC: D9FE10C0 3C000004
	ds_read_b128 v[64:67], v4 offset:4352                      // 0000000083F4: D9FE1100 40000004
	ds_read_b128 v[68:71], v4 offset:4416                      // 0000000083FC: D9FE1140 44000004
	s_waitcnt lgkmcnt(0)                                       // 000000008404: BF8CC07F
	v_mov_b32_e32 v18, v19                                     // 000000008408: 7E240313
	buffer_store_dwordx4 v[40:43], v18, s[8:11], 0 offen offset:512// 00000000840C: E07C1200 80022812
	buffer_store_dwordx4 v[56:59], v18, s[8:11], 0 offen offset:768// 000000008414: E07C1300 80023812
	v_add_u32_e32 v18, 0x2000, v18                             // 00000000841C: 682424FF 00002000
	buffer_store_dwordx4 v[44:47], v18, s[8:11], 0 offen offset:512// 000000008424: E07C1200 80022C12
	buffer_store_dwordx4 v[60:63], v18, s[8:11], 0 offen offset:768// 00000000842C: E07C1300 80023C12
	v_add_u32_e32 v18, 0x2000, v18                             // 000000008434: 682424FF 00002000
	buffer_store_dwordx4 v[48:51], v18, s[8:11], 0 offen offset:512// 00000000843C: E07C1200 80023012
	buffer_store_dwordx4 v[64:67], v18, s[8:11], 0 offen offset:768// 000000008444: E07C1300 80024012
	v_add_u32_e32 v18, 0x2000, v18                             // 00000000844C: 682424FF 00002000
	buffer_store_dwordx4 v[52:55], v18, s[8:11], 0 offen offset:512// 000000008454: E07C1200 80023412
	buffer_store_dwordx4 v[68:71], v18, s[8:11], 0 offen offset:768// 00000000845C: E07C1300 80024412
	v_add_u32_e32 v18, 0x2000, v18                             // 000000008464: 682424FF 00002000
	v_mov_b32_e32 v20, v104                                    // 00000000846C: 7E280368
	v_mov_b32_e32 v21, v108                                    // 000000008470: 7E2A036C
	v_mov_b32_e32 v22, v112                                    // 000000008474: 7E2C0370
	v_mov_b32_e32 v23, v116                                    // 000000008478: 7E2E0374
	ds_write_b128 v5, v[20:23]                                 // 00000000847C: D9BE0000 00001405
	v_mov_b32_e32 v20, v105                                    // 000000008484: 7E280369
	v_mov_b32_e32 v21, v109                                    // 000000008488: 7E2A036D
	v_mov_b32_e32 v22, v113                                    // 00000000848C: 7E2C0371
	v_mov_b32_e32 v23, v117                                    // 000000008490: 7E2E0375
	ds_write_b128 v5, v[20:23] offset:1056                     // 000000008494: D9BE0420 00001405
	v_mov_b32_e32 v20, v106                                    // 00000000849C: 7E28036A
	v_mov_b32_e32 v21, v110                                    // 0000000084A0: 7E2A036E
	v_mov_b32_e32 v22, v114                                    // 0000000084A4: 7E2C0372
	v_mov_b32_e32 v23, v118                                    // 0000000084A8: 7E2E0376
	ds_write_b128 v5, v[20:23] offset:2112                     // 0000000084AC: D9BE0840 00001405
	v_mov_b32_e32 v20, v107                                    // 0000000084B4: 7E28036B
	v_mov_b32_e32 v21, v111                                    // 0000000084B8: 7E2A036F
	v_mov_b32_e32 v22, v115                                    // 0000000084BC: 7E2C0373
	v_mov_b32_e32 v23, v119                                    // 0000000084C0: 7E2E0377
	ds_write_b128 v5, v[20:23] offset:3168                     // 0000000084C4: D9BE0C60 00001405
	v_mov_b32_e32 v20, v120                                    // 0000000084CC: 7E280378
	v_mov_b32_e32 v21, v124                                    // 0000000084D0: 7E2A037C
	v_mov_b32_e32 v22, v128                                    // 0000000084D4: 7E2C0380
	v_mov_b32_e32 v23, v132                                    // 0000000084D8: 7E2E0384
	ds_write_b128 v5, v[20:23] offset:4224                     // 0000000084DC: D9BE1080 00001405
	v_mov_b32_e32 v20, v121                                    // 0000000084E4: 7E280379
	v_mov_b32_e32 v21, v125                                    // 0000000084E8: 7E2A037D
	v_mov_b32_e32 v22, v129                                    // 0000000084EC: 7E2C0381
	v_mov_b32_e32 v23, v133                                    // 0000000084F0: 7E2E0385
	ds_write_b128 v5, v[20:23] offset:5280                     // 0000000084F4: D9BE14A0 00001405
	v_mov_b32_e32 v20, v122                                    // 0000000084FC: 7E28037A
	v_mov_b32_e32 v21, v126                                    // 000000008500: 7E2A037E
	v_mov_b32_e32 v22, v130                                    // 000000008504: 7E2C0382
	v_mov_b32_e32 v23, v134                                    // 000000008508: 7E2E0386
	ds_write_b128 v5, v[20:23] offset:6336                     // 00000000850C: D9BE18C0 00001405
	v_mov_b32_e32 v20, v123                                    // 000000008514: 7E28037B
	v_mov_b32_e32 v21, v127                                    // 000000008518: 7E2A037F
	v_mov_b32_e32 v22, v131                                    // 00000000851C: 7E2C0383
	v_mov_b32_e32 v23, v135                                    // 000000008520: 7E2E0387
	ds_write_b128 v5, v[20:23] offset:7392                     // 000000008524: D9BE1CE0 00001405
	s_waitcnt lgkmcnt(4)                                       // 00000000852C: BF8CC47F
	ds_read_b128 v[40:43], v4                                  // 000000008530: D9FE0000 28000004
	ds_read_b128 v[44:47], v4 offset:64                        // 000000008538: D9FE0040 2C000004
	ds_read_b128 v[48:51], v4 offset:128                       // 000000008540: D9FE0080 30000004
	ds_read_b128 v[52:55], v4 offset:192                       // 000000008548: D9FE00C0 34000004
	s_waitcnt lgkmcnt(4)                                       // 000000008550: BF8CC47F
	ds_read_b128 v[56:59], v4 offset:4224                      // 000000008554: D9FE1080 38000004
	ds_read_b128 v[60:63], v4 offset:4288                      // 00000000855C: D9FE10C0 3C000004
	ds_read_b128 v[64:67], v4 offset:4352                      // 000000008564: D9FE1100 40000004
	ds_read_b128 v[68:71], v4 offset:4416                      // 00000000856C: D9FE1140 44000004
	s_waitcnt lgkmcnt(0)                                       // 000000008574: BF8CC07F
	v_mov_b32_e32 v18, v19                                     // 000000008578: 7E240313
	buffer_store_dwordx4 v[40:43], v18, s[8:11], 0 offen offset:1024// 00000000857C: E07C1400 80022812
	buffer_store_dwordx4 v[56:59], v18, s[8:11], 0 offen offset:1280// 000000008584: E07C1500 80023812
	v_add_u32_e32 v18, 0x2000, v18                             // 00000000858C: 682424FF 00002000
	buffer_store_dwordx4 v[44:47], v18, s[8:11], 0 offen offset:1024// 000000008594: E07C1400 80022C12
	buffer_store_dwordx4 v[60:63], v18, s[8:11], 0 offen offset:1280// 00000000859C: E07C1500 80023C12
	v_add_u32_e32 v18, 0x2000, v18                             // 0000000085A4: 682424FF 00002000
	buffer_store_dwordx4 v[48:51], v18, s[8:11], 0 offen offset:1024// 0000000085AC: E07C1400 80023012
	buffer_store_dwordx4 v[64:67], v18, s[8:11], 0 offen offset:1280// 0000000085B4: E07C1500 80024012
	v_add_u32_e32 v18, 0x2000, v18                             // 0000000085BC: 682424FF 00002000
	buffer_store_dwordx4 v[52:55], v18, s[8:11], 0 offen offset:1024// 0000000085C4: E07C1400 80023412
	buffer_store_dwordx4 v[68:71], v18, s[8:11], 0 offen offset:1280// 0000000085CC: E07C1500 80024412
	v_add_u32_e32 v18, 0x2000, v18                             // 0000000085D4: 682424FF 00002000
	v_mov_b32_e32 v20, v136                                    // 0000000085DC: 7E280388
	v_mov_b32_e32 v21, v140                                    // 0000000085E0: 7E2A038C
	v_mov_b32_e32 v22, v144                                    // 0000000085E4: 7E2C0390
	v_mov_b32_e32 v23, v148                                    // 0000000085E8: 7E2E0394
	ds_write_b128 v5, v[20:23]                                 // 0000000085EC: D9BE0000 00001405
	v_mov_b32_e32 v20, v137                                    // 0000000085F4: 7E280389
	v_mov_b32_e32 v21, v141                                    // 0000000085F8: 7E2A038D
	v_mov_b32_e32 v22, v145                                    // 0000000085FC: 7E2C0391
	v_mov_b32_e32 v23, v149                                    // 000000008600: 7E2E0395
	ds_write_b128 v5, v[20:23] offset:1056                     // 000000008604: D9BE0420 00001405
	v_mov_b32_e32 v20, v138                                    // 00000000860C: 7E28038A
	v_mov_b32_e32 v21, v142                                    // 000000008610: 7E2A038E
	v_mov_b32_e32 v22, v146                                    // 000000008614: 7E2C0392
	v_mov_b32_e32 v23, v150                                    // 000000008618: 7E2E0396
	ds_write_b128 v5, v[20:23] offset:2112                     // 00000000861C: D9BE0840 00001405
	v_mov_b32_e32 v20, v139                                    // 000000008624: 7E28038B
	v_mov_b32_e32 v21, v143                                    // 000000008628: 7E2A038F
	v_mov_b32_e32 v22, v147                                    // 00000000862C: 7E2C0393
	v_mov_b32_e32 v23, v151                                    // 000000008630: 7E2E0397
	ds_write_b128 v5, v[20:23] offset:3168                     // 000000008634: D9BE0C60 00001405
	v_mov_b32_e32 v20, v152                                    // 00000000863C: 7E280398
	v_mov_b32_e32 v21, v156                                    // 000000008640: 7E2A039C
	v_mov_b32_e32 v22, v160                                    // 000000008644: 7E2C03A0
	v_mov_b32_e32 v23, v164                                    // 000000008648: 7E2E03A4
	ds_write_b128 v5, v[20:23] offset:4224                     // 00000000864C: D9BE1080 00001405
	v_mov_b32_e32 v20, v153                                    // 000000008654: 7E280399
	v_mov_b32_e32 v21, v157                                    // 000000008658: 7E2A039D
	v_mov_b32_e32 v22, v161                                    // 00000000865C: 7E2C03A1
	v_mov_b32_e32 v23, v165                                    // 000000008660: 7E2E03A5
	ds_write_b128 v5, v[20:23] offset:5280                     // 000000008664: D9BE14A0 00001405
	v_mov_b32_e32 v20, v154                                    // 00000000866C: 7E28039A
	v_mov_b32_e32 v21, v158                                    // 000000008670: 7E2A039E
	v_mov_b32_e32 v22, v162                                    // 000000008674: 7E2C03A2
	v_mov_b32_e32 v23, v166                                    // 000000008678: 7E2E03A6
	ds_write_b128 v5, v[20:23] offset:6336                     // 00000000867C: D9BE18C0 00001405
	v_mov_b32_e32 v20, v155                                    // 000000008684: 7E28039B
	v_mov_b32_e32 v21, v159                                    // 000000008688: 7E2A039F
	v_mov_b32_e32 v22, v163                                    // 00000000868C: 7E2C03A3
	v_mov_b32_e32 v23, v167                                    // 000000008690: 7E2E03A7
	ds_write_b128 v5, v[20:23] offset:7392                     // 000000008694: D9BE1CE0 00001405
	s_waitcnt lgkmcnt(4)                                       // 00000000869C: BF8CC47F
	ds_read_b128 v[40:43], v4                                  // 0000000086A0: D9FE0000 28000004
	ds_read_b128 v[44:47], v4 offset:64                        // 0000000086A8: D9FE0040 2C000004
	ds_read_b128 v[48:51], v4 offset:128                       // 0000000086B0: D9FE0080 30000004
	ds_read_b128 v[52:55], v4 offset:192                       // 0000000086B8: D9FE00C0 34000004
	s_waitcnt lgkmcnt(4)                                       // 0000000086C0: BF8CC47F
	ds_read_b128 v[56:59], v4 offset:4224                      // 0000000086C4: D9FE1080 38000004
	ds_read_b128 v[60:63], v4 offset:4288                      // 0000000086CC: D9FE10C0 3C000004
	ds_read_b128 v[64:67], v4 offset:4352                      // 0000000086D4: D9FE1100 40000004
	ds_read_b128 v[68:71], v4 offset:4416                      // 0000000086DC: D9FE1140 44000004
	s_waitcnt lgkmcnt(0)                                       // 0000000086E4: BF8CC07F
	v_mov_b32_e32 v18, v19                                     // 0000000086E8: 7E240313
	buffer_store_dwordx4 v[40:43], v18, s[8:11], 0 offen offset:1536// 0000000086EC: E07C1600 80022812
	buffer_store_dwordx4 v[56:59], v18, s[8:11], 0 offen offset:1792// 0000000086F4: E07C1700 80023812
	v_add_u32_e32 v18, 0x2000, v18                             // 0000000086FC: 682424FF 00002000
	buffer_store_dwordx4 v[44:47], v18, s[8:11], 0 offen offset:1536// 000000008704: E07C1600 80022C12
	buffer_store_dwordx4 v[60:63], v18, s[8:11], 0 offen offset:1792// 00000000870C: E07C1700 80023C12
	v_add_u32_e32 v18, 0x2000, v18                             // 000000008714: 682424FF 00002000
	buffer_store_dwordx4 v[48:51], v18, s[8:11], 0 offen offset:1536// 00000000871C: E07C1600 80023012
	buffer_store_dwordx4 v[64:67], v18, s[8:11], 0 offen offset:1792// 000000008724: E07C1700 80024012
	v_add_u32_e32 v18, 0x2000, v18                             // 00000000872C: 682424FF 00002000
	buffer_store_dwordx4 v[52:55], v18, s[8:11], 0 offen offset:1536// 000000008734: E07C1600 80023412
	buffer_store_dwordx4 v[68:71], v18, s[8:11], 0 offen offset:1792// 00000000873C: E07C1700 80024412
	v_add_u32_e32 v18, 0x2000, v18                             // 000000008744: 682424FF 00002000
	v_mov_b32_e32 v20, v24                                     // 00000000874C: 7E280318
	buffer_store_dword v24, v26, s[12:15], 0 offen             // 000000008750: E0701000 8003181A
	s_mul_i32 s56, 4, s77                                      // 000000008758: 92384D84
	v_add_u32_e64 v26, v26, s56                                // 00000000875C: D134001A 0000711A

0000000000008764 <label_1959>:
	s_mov_b32 s56, 32                                          // 000000008764: BEB800A0
	s_addk_i32 s85, 0x1                                        // 000000008768: B7550001
	s_cmp_lt_i32 s85, s86                                      // 00000000876C: BF045655
	s_cbranch_scc1 label_0029                                  // 000000008770: BF85E6CC

0000000000008774 <label_195D>:
	s_waitcnt vmcnt(0) expcnt(0) lgkmcnt(0)                    // 000000008774: BF8C0000
	s_endpgm                                                   // 000000008778: BF810000
